;; amdgpu-corpus repo=ROCm/rocFFT kind=compiled arch=gfx1030 opt=O3
	.text
	.amdgcn_target "amdgcn-amd-amdhsa--gfx1030"
	.amdhsa_code_object_version 6
	.protected	bluestein_single_back_len768_dim1_dp_op_CI_CI ; -- Begin function bluestein_single_back_len768_dim1_dp_op_CI_CI
	.globl	bluestein_single_back_len768_dim1_dp_op_CI_CI
	.p2align	8
	.type	bluestein_single_back_len768_dim1_dp_op_CI_CI,@function
bluestein_single_back_len768_dim1_dp_op_CI_CI: ; @bluestein_single_back_len768_dim1_dp_op_CI_CI
; %bb.0:
	s_load_dwordx4 s[12:15], s[4:5], 0x28
	v_mul_u32_u24_e32 v1, 0x556, v0
	v_mov_b32_e32 v209, 0
	s_mov_b32 s0, exec_lo
	v_lshrrev_b32_e32 v1, 16, v1
	v_add_nc_u32_e32 v208, s6, v1
	s_waitcnt lgkmcnt(0)
	v_cmpx_gt_u64_e64 s[12:13], v[208:209]
	s_cbranch_execz .LBB0_10
; %bb.1:
	s_clause 0x1
	s_load_dwordx4 s[8:11], s[4:5], 0x18
	s_load_dwordx4 s[0:3], s[4:5], 0x0
	v_mul_lo_u16 v1, v1, 48
	s_mov_b32 s21, 0x3fed906b
	s_load_dwordx2 s[4:5], s[4:5], 0x38
	v_sub_nc_u16 v64, v0, v1
	v_and_b32_e32 v214, 0xffff, v64
	v_or_b32_e32 v217, 0xc0, v214
	v_or_b32_e32 v216, 0x180, v214
	v_lshlrev_b32_e32 v213, 4, v214
	s_waitcnt lgkmcnt(0)
	s_load_dwordx4 s[16:19], s[8:9], 0x0
	v_or_b32_e32 v215, 0x240, v214
	s_clause 0x2
	global_load_dwordx4 v[56:59], v213, s[0:1]
	global_load_dwordx4 v[52:55], v213, s[0:1] offset:768
	global_load_dwordx4 v[48:51], v213, s[0:1] offset:1536
	v_add_co_u32 v22, s6, s0, v213
	v_add_co_ci_u32_e64 v23, null, s1, 0, s6
	v_lshlrev_b32_e32 v162, 4, v217
	v_add_co_u32 v0, vcc_lo, 0x800, v22
	v_add_co_ci_u32_e32 v1, vcc_lo, 0, v23, vcc_lo
	v_add_co_u32 v2, vcc_lo, 0x1000, v22
	v_add_co_ci_u32_e32 v3, vcc_lo, 0, v23, vcc_lo
	global_load_dwordx4 v[32:35], v162, s[0:1]
	v_lshlrev_b32_e32 v163, 4, v216
	s_waitcnt lgkmcnt(0)
	v_mad_u64_u32 v[4:5], null, s18, v208, 0
	v_mad_u64_u32 v[6:7], null, s16, v214, 0
	;; [unrolled: 1-line block ×3, first 2 shown]
	s_mul_i32 s6, s17, 0x300
	s_mul_hi_u32 s7, s16, 0x300
	s_mul_i32 s8, s16, 0x300
	s_add_i32 s7, s7, s6
	v_mad_u64_u32 v[10:11], null, s19, v208, v[5:6]
	v_mad_u64_u32 v[11:12], null, s16, v216, 0
	;; [unrolled: 1-line block ×4, first 2 shown]
	v_mov_b32_e32 v5, v10
	v_mad_u64_u32 v[9:10], null, s17, v217, v[9:10]
	v_mov_b32_e32 v10, v12
	v_mov_b32_e32 v7, v13
	v_lshlrev_b64 v[4:5], 4, v[4:5]
	s_mul_i32 s9, s17, 0x600
	s_mul_hi_u32 s12, s16, 0x600
	v_mad_u64_u32 v[12:13], null, s17, v216, v[10:11]
	v_lshlrev_b64 v[6:7], 4, v[6:7]
	v_add_co_u32 v13, vcc_lo, s14, v4
	v_add_co_ci_u32_e32 v17, vcc_lo, s15, v5, vcc_lo
	v_mov_b32_e32 v10, v15
	v_add_co_u32 v4, vcc_lo, v13, v6
	v_add_co_ci_u32_e32 v5, vcc_lo, v17, v7, vcc_lo
	v_lshlrev_b64 v[6:7], 4, v[8:9]
	v_add_co_u32 v8, vcc_lo, v4, s8
	v_add_co_ci_u32_e32 v9, vcc_lo, s7, v5, vcc_lo
	s_mul_i32 s13, s16, 0x600
	v_add_co_u32 v6, vcc_lo, v13, v6
	v_add_co_ci_u32_e32 v7, vcc_lo, v17, v7, vcc_lo
	v_add_co_u32 v15, vcc_lo, v8, s8
	v_add_co_ci_u32_e32 v16, vcc_lo, s7, v9, vcc_lo
	global_load_dwordx4 v[65:68], v[6:7], off
	v_add_co_u32 v6, vcc_lo, v15, s8
	v_add_co_ci_u32_e32 v7, vcc_lo, s7, v16, vcc_lo
	s_add_i32 s12, s12, s9
	s_clause 0x1
	global_load_dwordx4 v[69:72], v[4:5], off
	global_load_dwordx4 v[73:76], v[8:9], off
	v_add_co_u32 v4, vcc_lo, v6, s13
	v_add_co_ci_u32_e32 v5, vcc_lo, s12, v7, vcc_lo
	v_mad_u64_u32 v[8:9], null, s17, v215, v[10:11]
	s_clause 0x1
	global_load_dwordx4 v[77:80], v[15:16], off
	global_load_dwordx4 v[81:84], v[6:7], off
	v_add_co_u32 v6, vcc_lo, v4, s8
	v_add_co_ci_u32_e32 v7, vcc_lo, s7, v5, vcc_lo
	global_load_dwordx4 v[85:88], v[4:5], off
	v_add_co_u32 v4, vcc_lo, v6, s8
	s_clause 0x1
	global_load_dwordx4 v[60:63], v[0:1], off offset:256
	global_load_dwordx4 v[44:47], v[0:1], off offset:1792
	global_load_dwordx4 v[89:92], v[6:7], off
	v_lshlrev_b64 v[0:1], 4, v[11:12]
	v_add_co_ci_u32_e32 v5, vcc_lo, s7, v7, vcc_lo
	v_mov_b32_e32 v15, v8
	global_load_dwordx4 v[93:96], v[4:5], off
	s_clause 0x1
	global_load_dwordx4 v[40:43], v[2:3], off offset:512
	global_load_dwordx4 v[36:39], v[2:3], off offset:1280
	v_add_co_u32 v0, vcc_lo, v13, v0
	v_lshlrev_b64 v[2:3], 4, v[14:15]
	v_add_co_ci_u32_e32 v1, vcc_lo, v17, v1, vcc_lo
	v_add_co_u32 v4, vcc_lo, v4, s13
	v_add_co_ci_u32_e32 v5, vcc_lo, s12, v5, vcc_lo
	v_add_co_u32 v2, vcc_lo, v13, v2
	v_add_co_ci_u32_e32 v3, vcc_lo, v17, v3, vcc_lo
	v_lshlrev_b32_e32 v161, 4, v215
	global_load_dwordx4 v[97:100], v[0:1], off
	global_load_dwordx4 v[28:31], v163, s[0:1]
	global_load_dwordx4 v[101:104], v[4:5], off
	global_load_dwordx4 v[105:108], v[2:3], off
	global_load_dwordx4 v[0:3], v161, s[0:1]
	v_add_co_u32 v4, vcc_lo, v4, s8
	v_add_co_ci_u32_e32 v5, vcc_lo, s7, v5, vcc_lo
	v_add_co_u32 v6, vcc_lo, 0x1800, v22
	v_add_co_ci_u32_e32 v7, vcc_lo, 0, v23, vcc_lo
	;; [unrolled: 2-line block ×5, first 2 shown]
	global_load_dwordx4 v[109:112], v[4:5], off
	v_add_co_u32 v20, vcc_lo, v18, s8
	v_add_co_ci_u32_e32 v21, vcc_lo, s7, v19, vcc_lo
	v_add_co_u32 v24, vcc_lo, 0x2800, v22
	v_add_co_ci_u32_e32 v25, vcc_lo, 0, v23, vcc_lo
	v_add_co_u32 v125, vcc_lo, v20, s8
	s_clause 0x1
	global_load_dwordx4 v[12:15], v[6:7], off offset:768
	global_load_dwordx4 v[4:7], v[6:7], off offset:1536
	global_load_dwordx4 v[113:116], v[8:9], off
	global_load_dwordx4 v[8:11], v[16:17], off offset:256
	global_load_dwordx4 v[117:120], v[18:19], off
	v_add_co_ci_u32_e32 v126, vcc_lo, s7, v21, vcc_lo
	global_load_dwordx4 v[16:19], v[16:17], off offset:1792
	global_load_dwordx4 v[121:124], v[20:21], off
	s_clause 0x1
	global_load_dwordx4 v[20:23], v[24:25], off offset:512
	global_load_dwordx4 v[24:27], v[24:25], off offset:1280
	global_load_dwordx4 v[125:128], v[125:126], off
	s_load_dwordx4 s[8:11], s[10:11], 0x0
	s_mov_b32 s6, 0x667f3bcd
	s_mov_b32 s7, 0xbfe6a09e
	s_mov_b32 s13, 0x3fe6a09e
	s_mov_b32 s12, s6
	s_mov_b32 s14, 0xcf328d46
	s_mov_b32 s15, 0xbfed906b
	s_mov_b32 s20, s14
	s_mov_b32 s16, 0xa6aea964
	s_mov_b32 s17, 0xbfd87de2
	s_mov_b32 s19, 0x3fd87de2
	s_mov_b32 s18, s16
	v_cmp_gt_u16_e32 vcc_lo, 16, v64
	s_waitcnt vmcnt(27)
	v_mul_f64 v[133:134], v[67:68], v[34:35]
	v_mul_f64 v[135:136], v[65:66], v[34:35]
	s_waitcnt vmcnt(26)
	v_mul_f64 v[129:130], v[71:72], v[58:59]
	v_mul_f64 v[131:132], v[69:70], v[58:59]
	;; [unrolled: 3-line block ×6, first 2 shown]
	v_fma_f64 v[65:66], v[65:66], v[32:33], v[133:134]
	v_fma_f64 v[67:68], v[67:68], v[32:33], -v[135:136]
	v_fma_f64 v[69:70], v[69:70], v[56:57], v[129:130]
	v_fma_f64 v[71:72], v[71:72], v[56:57], -v[131:132]
	s_waitcnt vmcnt(17)
	v_mul_f64 v[129:130], v[91:92], v[42:43]
	v_mul_f64 v[131:132], v[89:90], v[42:43]
	s_waitcnt vmcnt(16)
	v_mul_f64 v[133:134], v[95:96], v[38:39]
	v_mul_f64 v[135:136], v[93:94], v[38:39]
	v_fma_f64 v[73:74], v[73:74], v[52:53], v[145:146]
	v_fma_f64 v[75:76], v[75:76], v[52:53], -v[147:148]
	v_fma_f64 v[77:78], v[77:78], v[48:49], v[149:150]
	v_fma_f64 v[79:80], v[79:80], v[48:49], -v[151:152]
	s_waitcnt vmcnt(14)
	v_mul_f64 v[137:138], v[99:100], v[30:31]
	v_mul_f64 v[139:140], v[97:98], v[30:31]
	v_fma_f64 v[81:82], v[81:82], v[60:61], v[153:154]
	s_waitcnt vmcnt(11)
	v_mul_f64 v[141:142], v[107:108], v[2:3]
	v_mul_f64 v[143:144], v[105:106], v[2:3]
	v_fma_f64 v[83:84], v[83:84], v[60:61], -v[155:156]
	v_fma_f64 v[85:86], v[85:86], v[44:45], v[157:158]
	v_fma_f64 v[87:88], v[87:88], v[44:45], -v[159:160]
	v_fma_f64 v[89:90], v[89:90], v[40:41], v[129:130]
	;; [unrolled: 2-line block ×5, first 2 shown]
	v_fma_f64 v[107:108], v[107:108], v[0:1], -v[143:144]
	s_waitcnt vmcnt(9)
	v_mul_f64 v[137:138], v[103:104], v[14:15]
	v_mul_f64 v[139:140], v[101:102], v[14:15]
	s_waitcnt vmcnt(8)
	v_mul_f64 v[141:142], v[111:112], v[6:7]
	v_mul_f64 v[143:144], v[109:110], v[6:7]
	;; [unrolled: 3-line block ×6, first 2 shown]
	v_fma_f64 v[101:102], v[101:102], v[12:13], v[137:138]
	v_fma_f64 v[103:104], v[103:104], v[12:13], -v[139:140]
	v_fma_f64 v[109:110], v[109:110], v[4:5], v[141:142]
	v_fma_f64 v[111:112], v[111:112], v[4:5], -v[143:144]
	;; [unrolled: 2-line block ×6, first 2 shown]
	ds_write_b128 v213, v[69:72]
	ds_write_b128 v213, v[65:68] offset:3072
	ds_write_b128 v213, v[97:100] offset:6144
	;; [unrolled: 1-line block ×15, first 2 shown]
	s_waitcnt lgkmcnt(0)
	s_barrier
	buffer_gl0_inv
	ds_read_b128 v[65:68], v213 offset:6144
	ds_read_b128 v[69:72], v213
	ds_read_b128 v[73:76], v213 offset:3072
	ds_read_b128 v[77:80], v213 offset:9216
	ds_read_b128 v[81:84], v213 offset:1536
	ds_read_b128 v[85:88], v213 offset:7680
	ds_read_b128 v[89:92], v213 offset:4608
	ds_read_b128 v[93:96], v213 offset:10752
	ds_read_b128 v[97:100], v213 offset:768
	ds_read_b128 v[101:104], v213 offset:6912
	ds_read_b128 v[105:108], v213 offset:3840
	ds_read_b128 v[109:112], v213 offset:9984
	ds_read_b128 v[113:116], v213 offset:2304
	ds_read_b128 v[117:120], v213 offset:8448
	ds_read_b128 v[121:124], v213 offset:5376
	ds_read_b128 v[125:128], v213 offset:11520
	s_waitcnt lgkmcnt(0)
	s_barrier
	buffer_gl0_inv
	v_add_f64 v[65:66], v[69:70], -v[65:66]
	v_add_f64 v[67:68], v[71:72], -v[67:68]
	;; [unrolled: 1-line block ×16, first 2 shown]
	v_fma_f64 v[69:70], v[69:70], 2.0, -v[65:66]
	v_fma_f64 v[71:72], v[71:72], 2.0, -v[67:68]
	;; [unrolled: 1-line block ×3, first 2 shown]
	v_add_f64 v[129:130], v[65:66], -v[79:80]
	v_add_f64 v[77:78], v[67:68], v[77:78]
	v_fma_f64 v[75:76], v[75:76], 2.0, -v[79:80]
	v_add_f64 v[133:134], v[87:88], v[93:94]
	v_add_f64 v[131:132], v[85:86], -v[95:96]
	v_fma_f64 v[79:80], v[81:82], 2.0, -v[85:86]
	v_fma_f64 v[81:82], v[83:84], 2.0, -v[87:88]
	v_add_f64 v[137:138], v[103:104], v[109:110]
	v_add_f64 v[135:136], v[101:102], -v[111:112]
	v_fma_f64 v[83:84], v[89:90], 2.0, -v[93:94]
	v_fma_f64 v[89:90], v[91:92], 2.0, -v[95:96]
	v_add_f64 v[139:140], v[117:118], -v[127:128]
	v_add_f64 v[141:142], v[119:120], v[125:126]
	v_fma_f64 v[91:92], v[97:98], 2.0, -v[101:102]
	v_fma_f64 v[93:94], v[99:100], 2.0, -v[103:104]
	;; [unrolled: 1-line block ×8, first 2 shown]
	v_add_f64 v[73:74], v[69:70], -v[73:74]
	v_fma_f64 v[65:66], v[65:66], 2.0, -v[129:130]
	v_fma_f64 v[67:68], v[67:68], 2.0, -v[77:78]
	v_add_f64 v[75:76], v[71:72], -v[75:76]
	v_fma_f64 v[87:88], v[87:88], 2.0, -v[133:134]
	v_fma_f64 v[85:86], v[85:86], 2.0, -v[131:132]
	v_fma_f64 v[115:116], v[131:132], s[12:13], v[129:130]
	v_fma_f64 v[103:104], v[103:104], 2.0, -v[137:138]
	v_fma_f64 v[101:102], v[101:102], 2.0, -v[135:136]
	v_add_f64 v[83:84], v[79:80], -v[83:84]
	v_add_f64 v[89:90], v[81:82], -v[89:90]
	v_fma_f64 v[111:112], v[117:118], 2.0, -v[139:140]
	v_fma_f64 v[113:114], v[119:120], 2.0, -v[141:142]
	v_fma_f64 v[117:118], v[133:134], s[12:13], v[77:78]
	v_fma_f64 v[119:120], v[139:140], s[12:13], v[135:136]
	v_add_f64 v[95:96], v[91:92], -v[95:96]
	v_add_f64 v[97:98], v[93:94], -v[97:98]
	v_fma_f64 v[121:122], v[141:142], s[12:13], v[137:138]
	v_add_f64 v[107:108], v[99:100], -v[107:108]
	v_add_f64 v[109:110], v[105:106], -v[109:110]
	v_fma_f64 v[69:70], v[69:70], 2.0, -v[73:74]
	v_fma_f64 v[71:72], v[71:72], 2.0, -v[75:76]
	v_fma_f64 v[125:126], v[87:88], s[6:7], v[67:68]
	v_fma_f64 v[123:124], v[85:86], s[6:7], v[65:66]
	;; [unrolled: 1-line block ×3, first 2 shown]
	v_fma_f64 v[79:80], v[79:80], 2.0, -v[83:84]
	v_fma_f64 v[81:82], v[81:82], 2.0, -v[89:90]
	v_fma_f64 v[127:128], v[111:112], s[6:7], v[101:102]
	v_fma_f64 v[143:144], v[113:114], s[6:7], v[103:104]
	v_add_f64 v[145:146], v[73:74], -v[89:90]
	v_add_f64 v[147:148], v[75:76], v[83:84]
	v_fma_f64 v[91:92], v[91:92], 2.0, -v[95:96]
	v_fma_f64 v[93:94], v[93:94], 2.0, -v[97:98]
	v_fma_f64 v[117:118], v[131:132], s[12:13], v[117:118]
	v_fma_f64 v[83:84], v[99:100], 2.0, -v[107:108]
	v_fma_f64 v[89:90], v[105:106], 2.0, -v[109:110]
	v_add_f64 v[99:100], v[95:96], -v[109:110]
	v_add_f64 v[105:106], v[97:98], v[107:108]
	v_fma_f64 v[107:108], v[141:142], s[6:7], v[119:120]
	v_fma_f64 v[109:110], v[139:140], s[12:13], v[121:122]
	;; [unrolled: 1-line block ×4, first 2 shown]
	v_fma_f64 v[125:126], v[129:130], 2.0, -v[115:116]
	v_add_f64 v[119:120], v[69:70], -v[79:80]
	v_add_f64 v[121:122], v[71:72], -v[81:82]
	v_fma_f64 v[113:114], v[113:114], s[6:7], v[127:128]
	v_fma_f64 v[111:112], v[111:112], s[12:13], v[143:144]
	v_fma_f64 v[73:74], v[73:74], 2.0, -v[145:146]
	v_fma_f64 v[123:124], v[75:76], 2.0, -v[147:148]
	;; [unrolled: 1-line block ×3, first 2 shown]
	v_add_f64 v[75:76], v[91:92], -v[83:84]
	v_add_f64 v[77:78], v[93:94], -v[89:90]
	v_fma_f64 v[86:87], v[95:96], 2.0, -v[99:100]
	v_fma_f64 v[84:85], v[97:98], 2.0, -v[105:106]
	;; [unrolled: 1-line block ×6, first 2 shown]
	v_fma_f64 v[79:80], v[99:100], s[12:13], v[145:146]
	v_fma_f64 v[81:82], v[105:106], s[12:13], v[147:148]
	;; [unrolled: 1-line block ×3, first 2 shown]
	v_fma_f64 v[139:140], v[69:70], 2.0, -v[119:120]
	v_fma_f64 v[141:142], v[71:72], 2.0, -v[121:122]
	;; [unrolled: 1-line block ×4, first 2 shown]
	v_fma_f64 v[103:104], v[107:108], s[20:21], v[115:116]
	v_fma_f64 v[155:156], v[113:114], s[18:19], v[131:132]
	;; [unrolled: 1-line block ×3, first 2 shown]
	v_fma_f64 v[90:91], v[91:92], 2.0, -v[75:76]
	v_fma_f64 v[92:93], v[93:94], 2.0, -v[77:78]
	v_fma_f64 v[143:144], v[86:87], s[6:7], v[73:74]
	v_fma_f64 v[149:150], v[84:85], s[6:7], v[123:124]
	v_fma_f64 v[151:152], v[95:96], s[16:17], v[125:126]
	v_fma_f64 v[153:154], v[88:89], s[16:17], v[127:128]
	v_add_f64 v[65:66], v[119:120], -v[77:78]
	v_add_f64 v[67:68], v[121:122], v[75:76]
	v_fma_f64 v[69:70], v[105:106], s[6:7], v[79:80]
	v_fma_f64 v[71:72], v[99:100], s[12:13], v[81:82]
	v_fma_f64 v[78:79], v[107:108], s[18:19], v[137:138]
	v_mov_b32_e32 v75, 4
	v_lshlrev_b16 v137, 4, v64
	v_fma_f64 v[159:160], v[101:102], s[14:15], v[129:130]
	v_fma_f64 v[164:165], v[97:98], s[14:15], v[135:136]
	;; [unrolled: 1-line block ×3, first 2 shown]
	v_add_f64 v[80:81], v[139:140], -v[90:91]
	v_add_f64 v[82:83], v[141:142], -v[92:93]
	v_fma_f64 v[84:85], v[84:85], s[6:7], v[143:144]
	v_fma_f64 v[86:87], v[86:87], s[12:13], v[149:150]
	;; [unrolled: 1-line block ×6, first 2 shown]
	v_fma_f64 v[104:105], v[145:146], 2.0, -v[69:70]
	v_fma_f64 v[106:107], v[147:148], 2.0, -v[71:72]
	v_fma_f64 v[110:111], v[117:118], 2.0, -v[78:79]
                                        ; implicit-def: $vgpr144_vgpr145
	v_fma_f64 v[96:97], v[97:98], s[16:17], v[159:160]
	v_fma_f64 v[98:99], v[101:102], s[18:19], v[164:165]
	v_fma_f64 v[100:101], v[119:120], 2.0, -v[65:66]
	v_fma_f64 v[102:103], v[121:122], 2.0, -v[67:68]
	;; [unrolled: 1-line block ×3, first 2 shown]
	v_lshlrev_b32_sdwa v160, v75, v137 dst_sel:DWORD dst_unused:UNUSED_PAD src0_sel:DWORD src1_sel:WORD_0
	v_fma_f64 v[112:113], v[139:140], 2.0, -v[80:81]
	v_fma_f64 v[114:115], v[141:142], 2.0, -v[82:83]
	;; [unrolled: 1-line block ×8, first 2 shown]
                                        ; implicit-def: $vgpr140_vgpr141
	v_fma_f64 v[128:129], v[129:130], 2.0, -v[96:97]
	v_fma_f64 v[130:131], v[135:136], 2.0, -v[98:99]
	ds_write_b128 v160, v[65:68] offset:192
	ds_write_b128 v160, v[69:72] offset:224
	;; [unrolled: 1-line block ×10, first 2 shown]
	ds_write_b128 v160, v[112:115]
	ds_write_b128 v160, v[116:119] offset:32
	ds_write_b128 v160, v[120:123] offset:48
	;; [unrolled: 1-line block ×5, first 2 shown]
	s_waitcnt lgkmcnt(0)
	s_barrier
	buffer_gl0_inv
	ds_read_b128 v[84:87], v213
	ds_read_b128 v[80:83], v213 offset:768
	ds_read_b128 v[112:115], v213 offset:8192
	;; [unrolled: 1-line block ×14, first 2 shown]
	s_and_saveexec_b32 s6, vcc_lo
	s_cbranch_execz .LBB0_3
; %bb.2:
	ds_read_b128 v[76:79], v213 offset:3840
	ds_read_b128 v[140:143], v213 offset:7936
	;; [unrolled: 1-line block ×3, first 2 shown]
.LBB0_3:
	s_or_b32 exec_lo, exec_lo, s6
	v_lshlrev_b32_e32 v64, 5, v214
	v_and_b32_e32 v204, 15, v214
	v_add_nc_u32_e32 v150, 0x90, v214
	v_lshrrev_b32_e32 v151, 4, v214
	v_lshrrev_b32_e32 v152, 4, v217
	v_and_b32_e32 v148, 0x1e0, v64
	v_lshlrev_b32_e32 v149, 5, v204
	v_lshrrev_b32_e32 v150, 4, v150
	v_mul_u32_u24_e32 v151, 48, v151
	v_mul_u32_u24_e32 v152, 48, v152
	s_clause 0x4
	global_load_dwordx4 v[64:67], v148, s[2:3]
	global_load_dwordx4 v[68:71], v148, s[2:3] offset:16
	global_load_dwordx4 v[72:75], v148, s[2:3] offset:8
	global_load_dwordx2 v[209:210], v148, s[2:3] offset:24
	global_load_dwordx2 v[211:212], v149, s[2:3]
	v_add_nc_u32_e32 v148, 48, v214
	v_add_nc_u32_e32 v149, 0x60, v214
	v_or_b32_e32 v205, v151, v204
	v_mul_u32_u24_e32 v206, 48, v150
	v_or_b32_e32 v207, v152, v204
	v_lshrrev_b32_e32 v148, 4, v148
	v_lshrrev_b32_e32 v149, 4, v149
	s_mov_b32 s6, 0xe8584caa
	s_mov_b32 s7, 0x3febb67a
	;; [unrolled: 1-line block ×3, first 2 shown]
	v_mul_u32_u24_e32 v148, 48, v148
	v_mul_u32_u24_e32 v149, 48, v149
	s_mov_b32 s12, s6
	v_lshlrev_b32_e32 v222, 4, v205
	v_lshlrev_b32_e32 v218, 4, v207
	v_or_b32_e32 v219, v148, v204
	v_or_b32_e32 v220, v149, v204
	s_waitcnt vmcnt(0) lgkmcnt(0)
	s_barrier
	buffer_gl0_inv
	v_lshlrev_b32_e32 v221, 4, v219
	v_lshlrev_b32_e32 v220, 4, v220
	v_mul_f64 v[192:193], v[142:143], v[72:73]
	v_mul_f64 v[148:149], v[138:139], v[66:67]
	;; [unrolled: 1-line block ×24, first 2 shown]
	v_fma_f64 v[136:137], v[136:137], v[211:212], -v[148:149]
	v_fma_f64 v[138:139], v[138:139], v[211:212], v[150:151]
	v_fma_f64 v[112:113], v[112:113], v[74:75], -v[152:153]
	v_fma_f64 v[114:115], v[114:115], v[74:75], v[154:155]
	;; [unrolled: 2-line block ×12, first 2 shown]
	v_add_f64 v[128:129], v[84:85], v[136:137]
	v_add_f64 v[130:131], v[136:137], v[112:113]
	v_add_f64 v[140:141], v[138:139], -v[114:115]
	v_add_f64 v[142:143], v[86:87], v[138:139]
	v_add_f64 v[138:139], v[138:139], v[114:115]
	v_add_f64 v[144:145], v[80:81], v[120:121]
	v_add_f64 v[146:147], v[120:121], v[148:149]
	v_add_f64 v[164:165], v[122:123], -v[150:151]
	v_add_f64 v[166:167], v[82:83], v[122:123]
	v_add_f64 v[122:123], v[122:123], v[150:151]
	;; [unrolled: 5-line block ×3, first 2 shown]
	v_add_f64 v[196:197], v[100:101], v[102:103]
	v_add_f64 v[200:201], v[106:107], v[104:105]
	;; [unrolled: 1-line block ×3, first 2 shown]
	v_add_f64 v[172:173], v[154:155], -v[126:127]
	v_add_f64 v[174:175], v[98:99], v[154:155]
	v_add_f64 v[154:155], v[154:155], v[126:127]
	;; [unrolled: 1-line block ×4, first 2 shown]
	v_add_f64 v[136:137], v[136:137], -v[112:113]
	v_add_f64 v[168:169], v[120:121], -v[148:149]
	v_add_f64 v[120:121], v[96:97], v[152:153]
	v_add_f64 v[184:185], v[132:133], -v[156:157]
	v_add_f64 v[132:133], v[92:93], v[108:109]
	v_add_f64 v[190:191], v[94:95], v[110:111]
	v_add_f64 v[194:195], v[108:109], -v[116:117]
	v_add_f64 v[198:199], v[106:107], -v[104:105]
	;; [unrolled: 1-line block ×3, first 2 shown]
	v_fma_f64 v[84:85], v[130:131], -0.5, v[84:85]
	v_add_f64 v[108:109], v[128:129], v[112:113]
	v_fma_f64 v[86:87], v[138:139], -0.5, v[86:87]
	v_fma_f64 v[80:81], v[146:147], -0.5, v[80:81]
	v_add_f64 v[112:113], v[144:145], v[148:149]
	v_fma_f64 v[82:83], v[122:123], -0.5, v[82:83]
	;; [unrolled: 3-line block ×3, first 2 shown]
	v_add_f64 v[90:91], v[182:183], v[158:159]
	v_fma_f64 v[156:157], v[196:197], -0.5, v[76:77]
	v_fma_f64 v[158:159], v[200:201], -0.5, v[78:79]
	v_add_f64 v[152:153], v[152:153], -v[124:125]
	v_add_f64 v[188:189], v[110:111], -v[118:119]
	v_add_f64 v[110:111], v[142:143], v[114:115]
	v_fma_f64 v[138:139], v[170:171], -0.5, v[96:97]
	v_fma_f64 v[142:143], v[154:155], -0.5, v[98:99]
	v_add_f64 v[114:115], v[166:167], v[150:151]
	v_fma_f64 v[150:151], v[186:187], -0.5, v[92:93]
	v_fma_f64 v[154:155], v[192:193], -0.5, v[94:95]
	v_add_f64 v[96:97], v[120:121], v[124:125]
	v_add_f64 v[98:99], v[174:175], v[126:127]
	;; [unrolled: 1-line block ×4, first 2 shown]
	v_fma_f64 v[116:117], v[140:141], s[6:7], v[84:85]
	v_fma_f64 v[120:121], v[140:141], s[12:13], v[84:85]
	;; [unrolled: 1-line block ×20, first 2 shown]
	v_or_b32_e32 v156, v206, v204
	v_fma_f64 v[148:149], v[188:189], s[6:7], v[150:151]
	v_fma_f64 v[152:153], v[188:189], s[12:13], v[150:151]
	;; [unrolled: 1-line block ×4, first 2 shown]
	v_lshlrev_b32_e32 v219, 4, v156
	ds_write_b128 v222, v[108:111]
	ds_write_b128 v222, v[116:119] offset:256
	ds_write_b128 v222, v[120:123] offset:512
	ds_write_b128 v221, v[112:115]
	ds_write_b128 v221, v[124:127] offset:256
	ds_write_b128 v221, v[128:131] offset:512
	;; [unrolled: 3-line block ×5, first 2 shown]
	s_and_saveexec_b32 s6, vcc_lo
	s_cbranch_execz .LBB0_5
; %bb.4:
	v_add_f64 v[78:79], v[78:79], v[106:107]
	v_add_f64 v[76:77], v[76:77], v[100:101]
	;; [unrolled: 1-line block ×4, first 2 shown]
	ds_write_b128 v213, v[80:83] offset:11776
	ds_write_b128 v213, v[76:79] offset:11520
	ds_write_b128 v213, v[84:87] offset:12032
.LBB0_5:
	s_or_b32 exec_lo, exec_lo, s6
	v_mad_u64_u32 v[168:169], null, 0xf0, v214, s[2:3]
	s_waitcnt lgkmcnt(0)
	s_barrier
	buffer_gl0_inv
	ds_read_b128 v[144:147], v213
	ds_read_b128 v[96:99], v213 offset:768
	ds_read_b128 v[100:103], v213 offset:1536
	;; [unrolled: 1-line block ×15, first 2 shown]
	s_mov_b32 s2, 0x667f3bcd
	s_mov_b32 s3, 0xbfe6a09e
	s_clause 0x3
	global_load_dwordx4 v[88:91], v[168:169], off offset:560
	global_load_dwordx4 v[76:79], v[168:169], off offset:544
	;; [unrolled: 1-line block ×4, first 2 shown]
	s_mov_b32 s7, 0x3fe6a09e
	s_mov_b32 s6, s2
	;; [unrolled: 1-line block ×10, first 2 shown]
	s_add_u32 s18, s0, 0x3000
	s_addc_u32 s19, s1, 0
	s_waitcnt vmcnt(0) lgkmcnt(14)
	v_mul_f64 v[170:171], v[98:99], v[110:111]
	v_fma_f64 v[170:171], v[96:97], v[108:109], -v[170:171]
	v_mul_f64 v[96:97], v[96:97], v[110:111]
	v_fma_f64 v[172:173], v[98:99], v[108:109], v[96:97]
	s_waitcnt lgkmcnt(13)
	v_mul_f64 v[96:97], v[102:103], v[94:95]
	v_fma_f64 v[174:175], v[100:101], v[92:93], -v[96:97]
	v_mul_f64 v[96:97], v[100:101], v[94:95]
	v_fma_f64 v[176:177], v[102:103], v[92:93], v[96:97]
	s_waitcnt lgkmcnt(12)
	v_mul_f64 v[96:97], v[106:107], v[78:79]
	v_fma_f64 v[178:179], v[104:105], v[76:77], -v[96:97]
	v_mul_f64 v[96:97], v[104:105], v[78:79]
	v_fma_f64 v[180:181], v[106:107], v[76:77], v[96:97]
	s_waitcnt lgkmcnt(11)
	v_mul_f64 v[96:97], v[114:115], v[90:91]
	v_fma_f64 v[182:183], v[112:113], v[88:89], -v[96:97]
	v_mul_f64 v[96:97], v[112:113], v[90:91]
	v_fma_f64 v[184:185], v[114:115], v[88:89], v[96:97]
	s_clause 0x3
	global_load_dwordx4 v[100:103], v[168:169], off offset:624
	global_load_dwordx4 v[96:99], v[168:169], off offset:608
	;; [unrolled: 1-line block ×4, first 2 shown]
	s_waitcnt vmcnt(0) lgkmcnt(10)
	v_mul_f64 v[186:187], v[118:119], v[114:115]
	v_fma_f64 v[186:187], v[116:117], v[112:113], -v[186:187]
	v_mul_f64 v[116:117], v[116:117], v[114:115]
	v_fma_f64 v[188:189], v[118:119], v[112:113], v[116:117]
	s_waitcnt lgkmcnt(9)
	v_mul_f64 v[116:117], v[122:123], v[106:107]
	v_fma_f64 v[190:191], v[120:121], v[104:105], -v[116:117]
	v_mul_f64 v[116:117], v[120:121], v[106:107]
	v_fma_f64 v[192:193], v[122:123], v[104:105], v[116:117]
	s_waitcnt lgkmcnt(8)
	;; [unrolled: 5-line block ×3, first 2 shown]
	v_mul_f64 v[116:117], v[130:131], v[102:103]
	v_fma_f64 v[198:199], v[128:129], v[100:101], -v[116:117]
	v_mul_f64 v[116:117], v[128:129], v[102:103]
	v_fma_f64 v[200:201], v[130:131], v[100:101], v[116:117]
	s_clause 0x3
	global_load_dwordx4 v[120:123], v[168:169], off offset:688
	global_load_dwordx4 v[116:119], v[168:169], off offset:672
	;; [unrolled: 1-line block ×4, first 2 shown]
	s_waitcnt vmcnt(0) lgkmcnt(6)
	v_mul_f64 v[202:203], v[142:143], v[130:131]
	v_fma_f64 v[202:203], v[140:141], v[128:129], -v[202:203]
	v_mul_f64 v[140:141], v[140:141], v[130:131]
	v_add_f64 v[202:203], v[170:171], -v[202:203]
	v_fma_f64 v[204:205], v[142:143], v[128:129], v[140:141]
	s_waitcnt lgkmcnt(5)
	v_mul_f64 v[140:141], v[166:167], v[126:127]
	v_fma_f64 v[170:171], v[170:171], 2.0, -v[202:203]
	v_add_f64 v[204:205], v[172:173], -v[204:205]
	v_fma_f64 v[206:207], v[164:165], v[124:125], -v[140:141]
	v_mul_f64 v[140:141], v[164:165], v[126:127]
	v_fma_f64 v[172:173], v[172:173], 2.0, -v[204:205]
	v_add_f64 v[206:207], v[174:175], -v[206:207]
	v_fma_f64 v[164:165], v[166:167], v[124:125], v[140:141]
	s_waitcnt lgkmcnt(4)
	v_mul_f64 v[140:141], v[138:139], v[118:119]
	v_fma_f64 v[174:175], v[174:175], 2.0, -v[206:207]
	v_add_f64 v[164:165], v[176:177], -v[164:165]
	v_fma_f64 v[166:167], v[136:137], v[116:117], -v[140:141]
	v_mul_f64 v[136:137], v[136:137], v[118:119]
	v_fma_f64 v[176:177], v[176:177], 2.0, -v[164:165]
	;; [unrolled: 9-line block ×3, first 2 shown]
	v_fma_f64 v[227:228], v[134:135], v[120:121], v[132:133]
	s_clause 0x2
	global_load_dwordx4 v[132:135], v[168:169], off offset:736
	global_load_dwordx4 v[136:139], v[168:169], off offset:720
	;; [unrolled: 1-line block ×3, first 2 shown]
	s_waitcnt vmcnt(0) lgkmcnt(2)
	v_mul_f64 v[168:169], v[158:159], v[142:143]
	v_fma_f64 v[168:169], v[156:157], v[140:141], -v[168:169]
	v_mul_f64 v[156:157], v[156:157], v[142:143]
	v_add_f64 v[168:169], v[186:187], -v[168:169]
	v_fma_f64 v[156:157], v[158:159], v[140:141], v[156:157]
	s_waitcnt lgkmcnt(1)
	v_mul_f64 v[158:159], v[154:155], v[138:139]
	v_fma_f64 v[186:187], v[186:187], 2.0, -v[168:169]
	v_add_f64 v[156:157], v[188:189], -v[156:157]
	v_fma_f64 v[158:159], v[152:153], v[136:137], -v[158:159]
	v_mul_f64 v[152:153], v[152:153], v[138:139]
	v_add_f64 v[168:169], v[204:205], v[168:169]
	v_add_f64 v[186:187], v[170:171], -v[186:187]
	v_fma_f64 v[188:189], v[188:189], 2.0, -v[156:157]
	v_add_f64 v[158:159], v[190:191], -v[158:159]
	v_fma_f64 v[152:153], v[154:155], v[136:137], v[152:153]
	s_waitcnt lgkmcnt(0)
	v_mul_f64 v[154:155], v[150:151], v[134:135]
	v_add_f64 v[156:157], v[202:203], -v[156:157]
	v_fma_f64 v[204:205], v[204:205], 2.0, -v[168:169]
	v_fma_f64 v[170:171], v[170:171], 2.0, -v[186:187]
	v_add_f64 v[188:189], v[172:173], -v[188:189]
	v_fma_f64 v[190:191], v[190:191], 2.0, -v[158:159]
	v_add_f64 v[152:153], v[192:193], -v[152:153]
	v_fma_f64 v[154:155], v[148:149], v[132:133], -v[154:155]
	v_mul_f64 v[148:149], v[148:149], v[134:135]
	v_add_f64 v[158:159], v[164:165], v[158:159]
	v_fma_f64 v[202:203], v[202:203], 2.0, -v[156:157]
	v_fma_f64 v[172:173], v[172:173], 2.0, -v[188:189]
	v_add_f64 v[190:191], v[174:175], -v[190:191]
	v_fma_f64 v[192:193], v[192:193], 2.0, -v[152:153]
	v_add_f64 v[152:153], v[206:207], -v[152:153]
	v_fma_f64 v[148:149], v[150:151], v[132:133], v[148:149]
	v_add_f64 v[150:151], v[144:145], -v[198:199]
	v_add_f64 v[198:199], v[146:147], -v[200:201]
	;; [unrolled: 1-line block ×5, first 2 shown]
	v_fma_f64 v[164:165], v[164:165], 2.0, -v[158:159]
	v_fma_f64 v[174:175], v[174:175], 2.0, -v[190:191]
	v_add_f64 v[192:193], v[176:177], -v[192:193]
	v_fma_f64 v[206:207], v[206:207], 2.0, -v[152:153]
	v_add_f64 v[148:149], v[196:197], -v[148:149]
	v_fma_f64 v[144:145], v[144:145], 2.0, -v[150:151]
	v_fma_f64 v[146:147], v[146:147], 2.0, -v[198:199]
	;; [unrolled: 1-line block ×4, first 2 shown]
	v_add_f64 v[225:226], v[150:151], -v[225:226]
	v_add_f64 v[200:201], v[198:199], v[200:201]
	v_fma_f64 v[194:195], v[194:195], 2.0, -v[154:155]
	v_add_f64 v[154:155], v[223:224], v[154:155]
	v_fma_f64 v[176:177], v[176:177], 2.0, -v[192:193]
	v_fma_f64 v[196:197], v[196:197], 2.0, -v[148:149]
	v_add_f64 v[148:149], v[166:167], -v[148:149]
	v_add_f64 v[182:183], v[144:145], -v[182:183]
	;; [unrolled: 1-line block ×3, first 2 shown]
	v_fma_f64 v[150:151], v[150:151], 2.0, -v[225:226]
	v_fma_f64 v[198:199], v[198:199], 2.0, -v[200:201]
	v_add_f64 v[194:195], v[178:179], -v[194:195]
	v_fma_f64 v[223:224], v[223:224], 2.0, -v[154:155]
	v_add_f64 v[196:197], v[180:181], -v[196:197]
	v_fma_f64 v[166:167], v[166:167], 2.0, -v[148:149]
	v_fma_f64 v[144:145], v[144:145], 2.0, -v[182:183]
	;; [unrolled: 1-line block ×3, first 2 shown]
	v_add_f64 v[233:234], v[182:183], -v[192:193]
	v_add_f64 v[235:236], v[184:185], v[190:191]
	v_fma_f64 v[178:179], v[178:179], 2.0, -v[194:195]
	v_fma_f64 v[180:181], v[180:181], 2.0, -v[196:197]
	v_add_f64 v[227:228], v[144:145], -v[174:175]
	v_add_f64 v[229:230], v[146:147], -v[176:177]
	v_fma_f64 v[182:183], v[182:183], 2.0, -v[233:234]
	v_fma_f64 v[184:185], v[184:185], 2.0, -v[235:236]
	v_add_f64 v[180:181], v[172:173], -v[180:181]
	v_fma_f64 v[174:175], v[144:145], 2.0, -v[227:228]
	v_fma_f64 v[176:177], v[146:147], 2.0, -v[229:230]
	v_fma_f64 v[144:145], v[206:207], s[2:3], v[150:151]
	v_fma_f64 v[146:147], v[164:165], s[2:3], v[198:199]
	;; [unrolled: 1-line block ×6, first 2 shown]
	v_fma_f64 v[164:165], v[150:151], 2.0, -v[231:232]
	v_fma_f64 v[150:151], v[166:167], s[2:3], v[202:203]
	v_fma_f64 v[239:240], v[152:153], s[6:7], v[146:147]
	;; [unrolled: 1-line block ×4, first 2 shown]
	v_fma_f64 v[146:147], v[172:173], 2.0, -v[180:181]
	v_fma_f64 v[172:173], v[154:155], s[6:7], v[168:169]
	v_fma_f64 v[198:199], v[198:199], 2.0, -v[206:207]
	v_add_f64 v[180:181], v[227:228], -v[180:181]
	v_fma_f64 v[223:224], v[223:224], s[2:3], v[150:151]
	v_fma_f64 v[192:193], v[200:201], 2.0, -v[239:240]
	v_add_f64 v[200:201], v[170:171], -v[178:179]
	v_fma_f64 v[150:151], v[148:149], s[6:7], v[156:157]
	v_fma_f64 v[190:191], v[225:226], 2.0, -v[237:238]
	v_fma_f64 v[225:226], v[166:167], s[6:7], v[152:153]
	v_add_f64 v[146:147], v[176:177], -v[146:147]
	v_fma_f64 v[158:159], v[202:203], 2.0, -v[223:224]
	v_add_f64 v[202:203], v[186:187], -v[196:197]
	v_fma_f64 v[144:145], v[170:171], 2.0, -v[200:201]
	v_fma_f64 v[241:242], v[154:155], s[2:3], v[150:151]
	v_add_f64 v[196:197], v[188:189], v[194:195]
	v_fma_f64 v[152:153], v[204:205], 2.0, -v[225:226]
	v_fma_f64 v[204:205], v[148:149], s[6:7], v[172:173]
	v_fma_f64 v[150:151], v[176:177], 2.0, -v[146:147]
	v_fma_f64 v[154:155], v[158:159], s[20:21], v[164:165]
	v_fma_f64 v[166:167], v[186:187], 2.0, -v[202:203]
	v_add_f64 v[144:145], v[174:175], -v[144:145]
	v_fma_f64 v[178:179], v[156:157], 2.0, -v[241:242]
	v_fma_f64 v[170:171], v[188:189], 2.0, -v[196:197]
	v_fma_f64 v[156:157], v[152:153], s[20:21], v[198:199]
	v_fma_f64 v[172:173], v[168:169], 2.0, -v[204:205]
	v_fma_f64 v[188:189], v[223:224], s[14:15], v[231:232]
	v_fma_f64 v[152:153], v[152:153], s[12:13], v[154:155]
	v_fma_f64 v[148:149], v[174:175], 2.0, -v[144:145]
	v_fma_f64 v[174:175], v[178:179], s[12:13], v[190:191]
	v_fma_f64 v[168:169], v[170:171], s[2:3], v[184:185]
	;; [unrolled: 1-line block ×5, first 2 shown]
	v_fma_f64 v[156:157], v[164:165], 2.0, -v[152:153]
	v_fma_f64 v[164:165], v[166:167], s[2:3], v[182:183]
	v_fma_f64 v[172:173], v[172:173], s[20:21], v[174:175]
	;; [unrolled: 1-line block ×3, first 2 shown]
	v_fma_f64 v[158:159], v[198:199], 2.0, -v[154:155]
	v_fma_f64 v[174:175], v[178:179], s[16:17], v[176:177]
	v_fma_f64 v[198:199], v[202:203], s[6:7], v[233:234]
	;; [unrolled: 1-line block ×3, first 2 shown]
	v_fma_f64 v[176:177], v[190:191], 2.0, -v[172:173]
	v_fma_f64 v[190:191], v[225:226], s[14:15], v[206:207]
	v_fma_f64 v[170:171], v[184:185], 2.0, -v[166:167]
	v_fma_f64 v[178:179], v[192:193], 2.0, -v[174:175]
	;; [unrolled: 1-line block ×5, first 2 shown]
	v_add_f64 v[182:183], v[229:230], v[200:201]
	v_fma_f64 v[200:201], v[196:197], s[6:7], v[235:236]
	v_fma_f64 v[190:191], v[223:224], s[16:17], v[190:191]
	;; [unrolled: 1-line block ×4, first 2 shown]
	v_fma_f64 v[186:187], v[229:230], 2.0, -v[182:183]
	v_fma_f64 v[198:199], v[202:203], s[6:7], v[200:201]
	v_fma_f64 v[194:195], v[206:207], 2.0, -v[190:191]
	v_fma_f64 v[206:207], v[241:242], s[16:17], v[237:238]
	v_fma_f64 v[200:201], v[233:234], 2.0, -v[196:197]
	v_fma_f64 v[202:203], v[235:236], 2.0, -v[198:199]
	v_fma_f64 v[204:205], v[204:205], s[12:13], v[206:207]
	v_fma_f64 v[206:207], v[241:242], s[14:15], v[223:224]
	v_fma_f64 v[223:224], v[237:238], 2.0, -v[204:205]
	v_fma_f64 v[225:226], v[239:240], 2.0, -v[206:207]
	ds_write_b128 v213, v[148:151]
	ds_write_b128 v213, v[156:159] offset:768
	ds_write_b128 v213, v[168:171] offset:1536
	;; [unrolled: 1-line block ×15, first 2 shown]
	v_lshlrev_b32_e32 v164, 4, v214
	s_waitcnt lgkmcnt(0)
	s_barrier
	buffer_gl0_inv
	ds_read_b128 v[144:147], v213
	global_load_dwordx4 v[152:155], v164, s[18:19]
	v_add_co_u32 v150, s0, s18, v164
	v_add_co_ci_u32_e64 v151, null, s19, 0, s0
	s_waitcnt vmcnt(0) lgkmcnt(0)
	v_mul_f64 v[148:149], v[146:147], v[154:155]
	v_fma_f64 v[156:157], v[144:145], v[152:153], -v[148:149]
	v_mul_f64 v[144:145], v[144:145], v[154:155]
	v_fma_f64 v[158:159], v[146:147], v[152:153], v[144:145]
	global_load_dwordx4 v[152:155], v164, s[18:19] offset:768
	ds_read_b128 v[144:147], v213 offset:768
	ds_write_b128 v213, v[156:159]
	s_waitcnt vmcnt(0) lgkmcnt(1)
	v_mul_f64 v[148:149], v[146:147], v[154:155]
	v_fma_f64 v[156:157], v[144:145], v[152:153], -v[148:149]
	v_mul_f64 v[144:145], v[144:145], v[154:155]
	v_fma_f64 v[158:159], v[146:147], v[152:153], v[144:145]
	global_load_dwordx4 v[152:155], v164, s[18:19] offset:1536
	ds_read_b128 v[144:147], v213 offset:1536
	ds_write_b128 v213, v[156:159] offset:768
	s_waitcnt vmcnt(0) lgkmcnt(1)
	v_mul_f64 v[148:149], v[146:147], v[154:155]
	v_fma_f64 v[156:157], v[144:145], v[152:153], -v[148:149]
	v_mul_f64 v[144:145], v[144:145], v[154:155]
	v_add_co_u32 v148, s0, 0x800, v150
	v_add_co_ci_u32_e64 v149, s0, 0, v151, s0
	v_fma_f64 v[158:159], v[146:147], v[152:153], v[144:145]
	global_load_dwordx4 v[152:155], v[148:149], off offset:256
	ds_read_b128 v[144:147], v213 offset:2304
	ds_write_b128 v213, v[156:159] offset:1536
	s_waitcnt vmcnt(0) lgkmcnt(1)
	v_mul_f64 v[156:157], v[146:147], v[154:155]
	v_fma_f64 v[156:157], v[144:145], v[152:153], -v[156:157]
	v_mul_f64 v[144:145], v[144:145], v[154:155]
	v_fma_f64 v[158:159], v[146:147], v[152:153], v[144:145]
	global_load_dwordx4 v[152:155], v162, s[18:19]
	ds_read_b128 v[144:147], v213 offset:3072
	ds_write_b128 v213, v[156:159] offset:2304
	s_waitcnt vmcnt(0) lgkmcnt(1)
	v_mul_f64 v[156:157], v[146:147], v[154:155]
	v_fma_f64 v[156:157], v[144:145], v[152:153], -v[156:157]
	v_mul_f64 v[144:145], v[144:145], v[154:155]
	v_fma_f64 v[158:159], v[146:147], v[152:153], v[144:145]
	global_load_dwordx4 v[152:155], v[148:149], off offset:1792
	ds_read_b128 v[144:147], v213 offset:3840
	ds_write_b128 v213, v[156:159] offset:3072
	s_waitcnt vmcnt(0) lgkmcnt(1)
	v_mul_f64 v[148:149], v[146:147], v[154:155]
	v_fma_f64 v[156:157], v[144:145], v[152:153], -v[148:149]
	v_mul_f64 v[144:145], v[144:145], v[154:155]
	v_add_co_u32 v148, s0, 0x1000, v150
	v_add_co_ci_u32_e64 v149, s0, 0, v151, s0
	v_fma_f64 v[158:159], v[146:147], v[152:153], v[144:145]
	global_load_dwordx4 v[152:155], v[148:149], off offset:512
	ds_read_b128 v[144:147], v213 offset:4608
	ds_write_b128 v213, v[156:159] offset:3840
	s_waitcnt vmcnt(0) lgkmcnt(1)
	v_mul_f64 v[156:157], v[146:147], v[154:155]
	v_fma_f64 v[156:157], v[144:145], v[152:153], -v[156:157]
	v_mul_f64 v[144:145], v[144:145], v[154:155]
	v_fma_f64 v[158:159], v[146:147], v[152:153], v[144:145]
	global_load_dwordx4 v[152:155], v[148:149], off offset:1280
	ds_read_b128 v[144:147], v213 offset:5376
	ds_write_b128 v213, v[156:159] offset:4608
	s_waitcnt vmcnt(0) lgkmcnt(1)
	v_mul_f64 v[148:149], v[146:147], v[154:155]
	v_fma_f64 v[156:157], v[144:145], v[152:153], -v[148:149]
	v_mul_f64 v[144:145], v[144:145], v[154:155]
	v_fma_f64 v[158:159], v[146:147], v[152:153], v[144:145]
	global_load_dwordx4 v[152:155], v163, s[18:19]
	ds_read_b128 v[144:147], v213 offset:6144
	ds_write_b128 v213, v[156:159] offset:5376
	s_waitcnt vmcnt(0) lgkmcnt(1)
	v_mul_f64 v[148:149], v[146:147], v[154:155]
	v_fma_f64 v[156:157], v[144:145], v[152:153], -v[148:149]
	v_mul_f64 v[144:145], v[144:145], v[154:155]
	v_add_co_u32 v148, s0, 0x1800, v150
	v_add_co_ci_u32_e64 v149, s0, 0, v151, s0
	v_fma_f64 v[158:159], v[146:147], v[152:153], v[144:145]
	global_load_dwordx4 v[152:155], v[148:149], off offset:768
	ds_read_b128 v[144:147], v213 offset:6912
	ds_write_b128 v213, v[156:159] offset:6144
	s_waitcnt vmcnt(0) lgkmcnt(1)
	v_mul_f64 v[156:157], v[146:147], v[154:155]
	v_fma_f64 v[156:157], v[144:145], v[152:153], -v[156:157]
	v_mul_f64 v[144:145], v[144:145], v[154:155]
	v_fma_f64 v[158:159], v[146:147], v[152:153], v[144:145]
	global_load_dwordx4 v[152:155], v[148:149], off offset:1536
	ds_read_b128 v[144:147], v213 offset:7680
	ds_write_b128 v213, v[156:159] offset:6912
	s_waitcnt vmcnt(0) lgkmcnt(1)
	v_mul_f64 v[148:149], v[146:147], v[154:155]
	v_fma_f64 v[156:157], v[144:145], v[152:153], -v[148:149]
	v_mul_f64 v[144:145], v[144:145], v[154:155]
	v_add_co_u32 v148, s0, 0x2000, v150
	v_add_co_ci_u32_e64 v149, s0, 0, v151, s0
	v_fma_f64 v[158:159], v[146:147], v[152:153], v[144:145]
	global_load_dwordx4 v[152:155], v[148:149], off offset:256
	ds_read_b128 v[144:147], v213 offset:8448
	ds_write_b128 v213, v[156:159] offset:7680
	s_waitcnt vmcnt(0) lgkmcnt(1)
	v_mul_f64 v[156:157], v[146:147], v[154:155]
	v_fma_f64 v[156:157], v[144:145], v[152:153], -v[156:157]
	v_mul_f64 v[144:145], v[144:145], v[154:155]
	v_fma_f64 v[158:159], v[146:147], v[152:153], v[144:145]
	global_load_dwordx4 v[152:155], v161, s[18:19]
	ds_read_b128 v[144:147], v213 offset:9216
	ds_write_b128 v213, v[156:159] offset:8448
	s_waitcnt vmcnt(0) lgkmcnt(1)
	v_mul_f64 v[156:157], v[146:147], v[154:155]
	v_fma_f64 v[156:157], v[144:145], v[152:153], -v[156:157]
	v_mul_f64 v[144:145], v[144:145], v[154:155]
	v_fma_f64 v[158:159], v[146:147], v[152:153], v[144:145]
	global_load_dwordx4 v[152:155], v[148:149], off offset:1792
	ds_read_b128 v[144:147], v213 offset:9984
	ds_write_b128 v213, v[156:159] offset:9216
	s_waitcnt vmcnt(0) lgkmcnt(1)
	v_mul_f64 v[148:149], v[146:147], v[154:155]
	v_fma_f64 v[156:157], v[144:145], v[152:153], -v[148:149]
	v_mul_f64 v[144:145], v[144:145], v[154:155]
	v_fma_f64 v[158:159], v[146:147], v[152:153], v[144:145]
	ds_read_b128 v[144:147], v213 offset:10752
	ds_write_b128 v213, v[156:159] offset:9984
	v_add_co_u32 v156, s0, 0x2800, v150
	v_add_co_ci_u32_e64 v157, s0, 0, v151, s0
	global_load_dwordx4 v[148:151], v[156:157], off offset:512
	s_waitcnt vmcnt(0) lgkmcnt(1)
	v_mul_f64 v[152:153], v[146:147], v[150:151]
	v_fma_f64 v[152:153], v[144:145], v[148:149], -v[152:153]
	v_mul_f64 v[144:145], v[144:145], v[150:151]
	v_fma_f64 v[154:155], v[146:147], v[148:149], v[144:145]
	global_load_dwordx4 v[148:151], v[156:157], off offset:1280
	ds_read_b128 v[144:147], v213 offset:11520
	ds_write_b128 v213, v[152:155] offset:10752
	s_waitcnt vmcnt(0) lgkmcnt(1)
	v_mul_f64 v[152:153], v[146:147], v[150:151]
	v_fma_f64 v[152:153], v[144:145], v[148:149], -v[152:153]
	v_mul_f64 v[144:145], v[144:145], v[150:151]
	v_fma_f64 v[154:155], v[146:147], v[148:149], v[144:145]
	ds_write_b128 v213, v[152:155] offset:11520
	s_waitcnt lgkmcnt(0)
	s_barrier
	buffer_gl0_inv
	ds_read_b128 v[144:147], v213
	ds_read_b128 v[148:151], v213 offset:768
	ds_read_b128 v[152:155], v213 offset:1536
	;; [unrolled: 1-line block ×15, first 2 shown]
	s_waitcnt lgkmcnt(0)
	s_barrier
	buffer_gl0_inv
	v_add_f64 v[177:178], v[144:145], -v[177:178]
	v_add_f64 v[179:180], v[146:147], -v[179:180]
	;; [unrolled: 1-line block ×16, first 2 shown]
	v_fma_f64 v[144:145], v[144:145], 2.0, -v[177:178]
	v_fma_f64 v[146:147], v[146:147], 2.0, -v[179:180]
	;; [unrolled: 1-line block ×8, first 2 shown]
	v_add_f64 v[195:196], v[177:178], v[195:196]
	v_add_f64 v[193:194], v[179:180], -v[193:194]
	v_add_f64 v[203:204], v[185:186], v[203:204]
	v_add_f64 v[201:202], v[187:188], -v[201:202]
	v_fma_f64 v[148:149], v[148:149], 2.0, -v[181:182]
	v_fma_f64 v[150:151], v[150:151], 2.0, -v[183:184]
	;; [unrolled: 1-line block ×8, first 2 shown]
	v_add_f64 v[199:200], v[181:182], v[199:200]
	v_add_f64 v[197:198], v[183:184], -v[197:198]
	v_add_f64 v[223:224], v[189:190], v[223:224]
	v_add_f64 v[205:206], v[191:192], -v[205:206]
	v_add_f64 v[161:162], v[144:145], -v[161:162]
	;; [unrolled: 1-line block ×5, first 2 shown]
	v_fma_f64 v[177:178], v[177:178], 2.0, -v[195:196]
	v_fma_f64 v[179:180], v[179:180], 2.0, -v[193:194]
	;; [unrolled: 1-line block ×4, first 2 shown]
	v_add_f64 v[165:166], v[148:149], -v[165:166]
	v_add_f64 v[167:168], v[150:151], -v[167:168]
	;; [unrolled: 1-line block ×4, first 2 shown]
	v_fma_f64 v[181:182], v[181:182], 2.0, -v[199:200]
	v_fma_f64 v[183:184], v[183:184], 2.0, -v[197:198]
	;; [unrolled: 1-line block ×8, first 2 shown]
	v_add_f64 v[233:234], v[161:162], v[171:172]
	v_add_f64 v[235:236], v[163:164], -v[169:170]
	v_fma_f64 v[148:149], v[148:149], 2.0, -v[165:166]
	v_fma_f64 v[150:151], v[150:151], 2.0, -v[167:168]
	;; [unrolled: 1-line block ×4, first 2 shown]
	v_add_f64 v[225:226], v[144:145], -v[152:153]
	v_add_f64 v[227:228], v[146:147], -v[154:155]
	v_fma_f64 v[152:153], v[185:186], s[2:3], v[177:178]
	v_fma_f64 v[154:155], v[187:188], s[2:3], v[179:180]
	v_fma_f64 v[169:170], v[161:162], 2.0, -v[233:234]
	v_fma_f64 v[171:172], v[163:164], 2.0, -v[235:236]
	;; [unrolled: 1-line block ×4, first 2 shown]
	v_fma_f64 v[229:230], v[187:188], s[6:7], v[152:153]
	v_fma_f64 v[231:232], v[185:186], s[2:3], v[154:155]
	;; [unrolled: 1-line block ×4, first 2 shown]
	v_fma_f64 v[177:178], v[177:178], 2.0, -v[229:230]
	v_fma_f64 v[179:180], v[179:180], 2.0, -v[231:232]
	v_fma_f64 v[237:238], v[201:202], s[6:7], v[152:153]
	v_fma_f64 v[239:240], v[203:204], s[2:3], v[154:155]
	;; [unrolled: 1-line block ×4, first 2 shown]
	v_add_f64 v[201:202], v[165:166], v[175:176]
	v_add_f64 v[203:204], v[167:168], -v[173:174]
	v_fma_f64 v[185:186], v[195:196], 2.0, -v[237:238]
	v_fma_f64 v[187:188], v[193:194], 2.0, -v[239:240]
	v_add_f64 v[193:194], v[148:149], -v[156:157]
	v_add_f64 v[195:196], v[150:151], -v[158:159]
	v_fma_f64 v[191:192], v[191:192], s[6:7], v[152:153]
	v_fma_f64 v[189:190], v[189:190], s[2:3], v[154:155]
	v_fma_f64 v[152:153], v[223:224], s[6:7], v[199:200]
	v_fma_f64 v[154:155], v[205:206], s[6:7], v[197:198]
	v_fma_f64 v[173:174], v[165:166], 2.0, -v[201:202]
	v_fma_f64 v[165:166], v[167:168], 2.0, -v[203:204]
	;; [unrolled: 1-line block ×6, first 2 shown]
	v_fma_f64 v[205:206], v[205:206], s[6:7], v[152:153]
	v_fma_f64 v[223:224], v[223:224], s[2:3], v[154:155]
	v_add_f64 v[183:184], v[227:228], -v[193:194]
	v_add_f64 v[148:149], v[144:145], -v[148:149]
	;; [unrolled: 1-line block ×3, first 2 shown]
	v_fma_f64 v[175:176], v[199:200], 2.0, -v[205:206]
	v_fma_f64 v[181:182], v[197:198], 2.0, -v[223:224]
	;; [unrolled: 1-line block ×4, first 2 shown]
	v_fma_f64 v[144:145], v[158:159], s[20:21], v[177:178]
	v_fma_f64 v[146:147], v[156:157], s[20:21], v[179:180]
	;; [unrolled: 1-line block ×6, first 2 shown]
	v_fma_f64 v[161:162], v[177:178], 2.0, -v[156:157]
	v_fma_f64 v[163:164], v[179:180], 2.0, -v[158:159]
	v_fma_f64 v[165:166], v[165:166], s[6:7], v[144:145]
	v_fma_f64 v[167:168], v[173:174], s[2:3], v[146:147]
	;; [unrolled: 1-line block ×4, first 2 shown]
	v_fma_f64 v[169:170], v[169:170], 2.0, -v[165:166]
	v_fma_f64 v[171:172], v[171:172], 2.0, -v[167:168]
	v_fma_f64 v[173:174], v[181:182], s[16:17], v[144:145]
	v_fma_f64 v[175:176], v[175:176], s[20:21], v[146:147]
	;; [unrolled: 1-line block ×4, first 2 shown]
	v_add_f64 v[181:182], v[225:226], v[195:196]
	v_fma_f64 v[177:178], v[185:186], 2.0, -v[173:174]
	v_fma_f64 v[179:180], v[187:188], 2.0, -v[175:176]
	v_fma_f64 v[189:190], v[189:190], s[16:17], v[144:145]
	v_fma_f64 v[191:192], v[191:192], s[20:21], v[146:147]
	;; [unrolled: 1-line block ×4, first 2 shown]
	v_fma_f64 v[185:186], v[225:226], 2.0, -v[181:182]
	v_fma_f64 v[187:188], v[227:228], 2.0, -v[183:184]
	;; [unrolled: 1-line block ×4, first 2 shown]
	v_fma_f64 v[197:198], v[203:204], s[6:7], v[144:145]
	v_fma_f64 v[199:200], v[201:202], s[2:3], v[146:147]
	;; [unrolled: 1-line block ×4, first 2 shown]
	v_fma_f64 v[201:202], v[233:234], 2.0, -v[197:198]
	v_fma_f64 v[203:204], v[235:236], 2.0, -v[199:200]
	v_fma_f64 v[144:145], v[223:224], s[14:15], v[144:145]
	v_fma_f64 v[146:147], v[205:206], s[12:13], v[146:147]
	v_fma_f64 v[223:224], v[237:238], 2.0, -v[144:145]
	v_fma_f64 v[225:226], v[239:240], 2.0, -v[146:147]
	ds_write_b128 v160, v[152:155]
	ds_write_b128 v160, v[161:164] offset:16
	ds_write_b128 v160, v[169:172] offset:32
	;; [unrolled: 1-line block ×15, first 2 shown]
	s_waitcnt lgkmcnt(0)
	s_barrier
	buffer_gl0_inv
	ds_read_b128 v[180:183], v213
	ds_read_b128 v[204:207], v213 offset:4096
	ds_read_b128 v[184:187], v213 offset:8192
	ds_read_b128 v[160:163], v213 offset:768
	ds_read_b128 v[200:203], v213 offset:4864
	ds_read_b128 v[176:179], v213 offset:8960
	ds_read_b128 v[156:159], v213 offset:1536
	ds_read_b128 v[196:199], v213 offset:5632
	ds_read_b128 v[164:167], v213 offset:9728
	ds_read_b128 v[152:155], v213 offset:2304
	ds_read_b128 v[188:191], v213 offset:6400
	ds_read_b128 v[168:171], v213 offset:10496
	ds_read_b128 v[148:151], v213 offset:3072
	ds_read_b128 v[192:195], v213 offset:7168
	ds_read_b128 v[172:175], v213 offset:11264
	s_and_saveexec_b32 s0, vcc_lo
	s_cbranch_execz .LBB0_7
; %bb.6:
	ds_read_b128 v[144:147], v213 offset:3840
	ds_read_b128 v[80:83], v213 offset:7936
	;; [unrolled: 1-line block ×3, first 2 shown]
.LBB0_7:
	s_or_b32 exec_lo, exec_lo, s0
	s_waitcnt lgkmcnt(13)
	v_mul_f64 v[223:224], v[66:67], v[206:207]
	s_mov_b32 s0, 0xe8584caa
	s_mov_b32 s1, 0xbfebb67a
	s_mov_b32 s3, 0x3febb67a
	s_mov_b32 s2, s0
	s_waitcnt lgkmcnt(0)
	s_barrier
	buffer_gl0_inv
	v_fma_f64 v[223:224], v[211:212], v[204:205], v[223:224]
	v_mul_f64 v[204:205], v[66:67], v[204:205]
	v_fma_f64 v[204:205], v[211:212], v[206:207], -v[204:205]
	v_mul_f64 v[206:207], v[66:67], v[202:203]
	v_fma_f64 v[206:207], v[211:212], v[200:201], v[206:207]
	v_mul_f64 v[200:201], v[66:67], v[200:201]
	v_fma_f64 v[200:201], v[211:212], v[202:203], -v[200:201]
	v_mul_f64 v[202:203], v[66:67], v[198:199]
	;; [unrolled: 4-line block ×4, first 2 shown]
	v_mul_f64 v[66:67], v[66:67], v[192:193]
	v_fma_f64 v[227:228], v[211:212], v[192:193], v[188:189]
	v_mul_f64 v[188:189], v[70:71], v[186:187]
	v_fma_f64 v[66:67], v[211:212], v[194:195], -v[66:67]
	v_fma_f64 v[188:189], v[74:75], v[184:185], v[188:189]
	v_mul_f64 v[184:185], v[70:71], v[184:185]
	v_add_f64 v[194:195], v[223:224], -v[188:189]
	v_fma_f64 v[184:185], v[74:75], v[186:187], -v[184:185]
	v_add_f64 v[186:187], v[223:224], v[188:189]
	v_add_f64 v[190:191], v[204:205], v[184:185]
	v_fma_f64 v[186:187], v[186:187], -0.5, v[180:181]
	v_add_f64 v[180:181], v[180:181], v[223:224]
	v_add_f64 v[192:193], v[204:205], -v[184:185]
	v_fma_f64 v[190:191], v[190:191], -0.5, v[182:183]
	v_add_f64 v[182:183], v[182:183], v[204:205]
	v_add_f64 v[180:181], v[180:181], v[188:189]
	v_fma_f64 v[188:189], v[192:193], s[2:3], v[186:187]
	v_add_f64 v[182:183], v[182:183], v[184:185]
	v_fma_f64 v[184:185], v[192:193], s[0:1], v[186:187]
	v_fma_f64 v[186:187], v[194:195], s[2:3], v[190:191]
	v_fma_f64 v[190:191], v[194:195], s[0:1], v[190:191]
	ds_write_b128 v222, v[180:183]
	ds_write_b128 v222, v[184:187] offset:256
	ds_write_b128 v222, v[188:191] offset:512
	v_mul_f64 v[180:181], v[70:71], v[178:179]
	v_fma_f64 v[180:181], v[74:75], v[176:177], v[180:181]
	v_mul_f64 v[176:177], v[70:71], v[176:177]
	v_fma_f64 v[176:177], v[74:75], v[178:179], -v[176:177]
	v_mul_f64 v[178:179], v[70:71], v[166:167]
	v_fma_f64 v[178:179], v[74:75], v[164:165], v[178:179]
	v_mul_f64 v[164:165], v[70:71], v[164:165]
	v_fma_f64 v[182:183], v[74:75], v[166:167], -v[164:165]
	v_mul_f64 v[164:165], v[70:71], v[170:171]
	v_add_f64 v[166:167], v[200:201], -v[176:177]
	v_fma_f64 v[184:185], v[74:75], v[168:169], v[164:165]
	v_mul_f64 v[164:165], v[70:71], v[168:169]
	v_fma_f64 v[186:187], v[74:75], v[170:171], -v[164:165]
	v_mul_f64 v[164:165], v[70:71], v[174:175]
	v_mul_f64 v[70:71], v[70:71], v[172:173]
	v_fma_f64 v[188:189], v[74:75], v[172:173], v[164:165]
	v_fma_f64 v[70:71], v[74:75], v[174:175], -v[70:71]
	v_add_f64 v[74:75], v[206:207], v[180:181]
	v_add_f64 v[164:165], v[200:201], v[176:177]
	v_add_f64 v[172:173], v[206:207], -v[180:181]
	v_add_f64 v[174:175], v[196:197], -v[182:183]
	v_fma_f64 v[74:75], v[74:75], -0.5, v[160:161]
	v_fma_f64 v[170:171], v[164:165], -0.5, v[162:163]
	v_add_f64 v[160:161], v[160:161], v[206:207]
	v_add_f64 v[162:163], v[162:163], v[200:201]
	v_fma_f64 v[164:165], v[166:167], s[0:1], v[74:75]
	v_fma_f64 v[168:169], v[166:167], s[2:3], v[74:75]
	v_add_f64 v[74:75], v[202:203], v[178:179]
	v_fma_f64 v[166:167], v[172:173], s[2:3], v[170:171]
	v_fma_f64 v[170:171], v[172:173], s[0:1], v[170:171]
	v_add_f64 v[172:173], v[196:197], v[182:183]
	v_add_f64 v[160:161], v[160:161], v[180:181]
	;; [unrolled: 1-line block ×3, first 2 shown]
	v_fma_f64 v[74:75], v[74:75], -0.5, v[156:157]
	v_add_f64 v[156:157], v[156:157], v[202:203]
	v_fma_f64 v[180:181], v[172:173], -0.5, v[158:159]
	v_add_f64 v[158:159], v[158:159], v[196:197]
	v_fma_f64 v[172:173], v[174:175], s[0:1], v[74:75]
	v_add_f64 v[156:157], v[156:157], v[178:179]
	v_add_f64 v[178:179], v[202:203], -v[178:179]
	v_fma_f64 v[176:177], v[174:175], s[2:3], v[74:75]
	v_add_f64 v[74:75], v[198:199], v[184:185]
	v_add_f64 v[158:159], v[158:159], v[182:183]
	v_add_f64 v[182:183], v[225:226], -v[186:187]
	v_fma_f64 v[174:175], v[178:179], s[2:3], v[180:181]
	v_fma_f64 v[178:179], v[178:179], s[0:1], v[180:181]
	v_add_f64 v[180:181], v[225:226], v[186:187]
	v_fma_f64 v[74:75], v[74:75], -0.5, v[152:153]
	v_add_f64 v[152:153], v[152:153], v[198:199]
	v_fma_f64 v[190:191], v[180:181], -0.5, v[154:155]
	v_add_f64 v[154:155], v[154:155], v[225:226]
	v_add_f64 v[152:153], v[152:153], v[184:185]
	v_fma_f64 v[180:181], v[182:183], s[0:1], v[74:75]
	v_add_f64 v[154:155], v[154:155], v[186:187]
	v_add_f64 v[186:187], v[198:199], -v[184:185]
	v_fma_f64 v[184:185], v[182:183], s[2:3], v[74:75]
	v_add_f64 v[74:75], v[227:228], v[188:189]
	v_fma_f64 v[182:183], v[186:187], s[2:3], v[190:191]
	v_fma_f64 v[186:187], v[186:187], s[0:1], v[190:191]
	v_add_f64 v[190:191], v[66:67], v[70:71]
	v_fma_f64 v[74:75], v[74:75], -0.5, v[148:149]
	v_add_f64 v[148:149], v[148:149], v[227:228]
	v_fma_f64 v[194:195], v[190:191], -0.5, v[150:151]
	v_add_f64 v[150:151], v[150:151], v[66:67]
	v_add_f64 v[66:67], v[66:67], -v[70:71]
	v_add_f64 v[148:149], v[148:149], v[188:189]
	v_add_f64 v[150:151], v[150:151], v[70:71]
	v_add_f64 v[70:71], v[227:228], -v[188:189]
	v_fma_f64 v[188:189], v[66:67], s[0:1], v[74:75]
	v_fma_f64 v[192:193], v[66:67], s[2:3], v[74:75]
	;; [unrolled: 1-line block ×4, first 2 shown]
	ds_write_b128 v221, v[160:163]
	ds_write_b128 v221, v[164:167] offset:256
	ds_write_b128 v221, v[168:171] offset:512
	ds_write_b128 v220, v[156:159]
	ds_write_b128 v220, v[172:175] offset:256
	ds_write_b128 v220, v[176:179] offset:512
	;; [unrolled: 3-line block ×4, first 2 shown]
	s_and_saveexec_b32 s6, vcc_lo
	s_cbranch_execz .LBB0_9
; %bb.8:
	v_mul_f64 v[66:67], v[72:73], v[80:81]
	v_mul_f64 v[70:71], v[209:210], v[84:85]
	;; [unrolled: 1-line block ×4, first 2 shown]
	v_fma_f64 v[66:67], v[64:65], v[82:83], -v[66:67]
	v_fma_f64 v[70:71], v[68:69], v[86:87], -v[70:71]
	v_fma_f64 v[64:65], v[64:65], v[80:81], v[72:73]
	v_fma_f64 v[68:69], v[68:69], v[84:85], v[74:75]
	v_add_f64 v[82:83], v[146:147], v[66:67]
	v_add_f64 v[72:73], v[66:67], v[70:71]
	v_add_f64 v[84:85], v[66:67], -v[70:71]
	v_add_f64 v[74:75], v[64:65], v[68:69]
	v_add_f64 v[80:81], v[64:65], -v[68:69]
	v_add_f64 v[64:65], v[144:145], v[64:65]
	v_add_f64 v[66:67], v[82:83], v[70:71]
	v_fma_f64 v[72:73], v[72:73], -0.5, v[146:147]
	v_fma_f64 v[86:87], v[74:75], -0.5, v[144:145]
	v_add_f64 v[64:65], v[64:65], v[68:69]
	v_fma_f64 v[70:71], v[80:81], s[0:1], v[72:73]
	v_fma_f64 v[74:75], v[80:81], s[2:3], v[72:73]
	;; [unrolled: 1-line block ×4, first 2 shown]
	ds_write_b128 v213, v[64:67] offset:11520
	ds_write_b128 v213, v[72:75] offset:11776
	;; [unrolled: 1-line block ×3, first 2 shown]
.LBB0_9:
	s_or_b32 exec_lo, exec_lo, s6
	s_waitcnt lgkmcnt(0)
	s_barrier
	buffer_gl0_inv
	ds_read_b128 v[64:67], v213 offset:768
	ds_read_b128 v[68:71], v213 offset:1536
	;; [unrolled: 1-line block ×5, first 2 shown]
	ds_read_b128 v[144:147], v213
	ds_read_b128 v[148:151], v213 offset:4608
	ds_read_b128 v[152:155], v213 offset:5376
	ds_read_b128 v[156:159], v213 offset:6144
	ds_read_b128 v[160:163], v213 offset:6912
	ds_read_b128 v[164:167], v213 offset:7680
	ds_read_b128 v[168:171], v213 offset:9216
	ds_read_b128 v[172:175], v213 offset:8448
	ds_read_b128 v[176:179], v213 offset:9984
	ds_read_b128 v[180:183], v213 offset:10752
	ds_read_b128 v[184:187], v213 offset:11520
	s_mov_b32 s0, 0x667f3bcd
	s_mov_b32 s1, 0xbfe6a09e
	;; [unrolled: 1-line block ×7, first 2 shown]
	s_waitcnt lgkmcnt(15)
	v_mul_f64 v[188:189], v[110:111], v[66:67]
	v_mul_f64 v[110:111], v[110:111], v[64:65]
	s_waitcnt lgkmcnt(13)
	v_mul_f64 v[192:193], v[90:91], v[74:75]
	v_mul_f64 v[90:91], v[90:91], v[72:73]
	;; [unrolled: 1-line block ×4, first 2 shown]
	s_waitcnt lgkmcnt(11)
	v_mul_f64 v[196:197], v[114:115], v[86:87]
	v_mul_f64 v[114:115], v[114:115], v[84:85]
	s_waitcnt lgkmcnt(9)
	v_mul_f64 v[198:199], v[106:107], v[150:151]
	v_mul_f64 v[106:107], v[106:107], v[148:149]
	;; [unrolled: 3-line block ×5, first 2 shown]
	v_mul_f64 v[194:195], v[78:79], v[82:83]
	v_mul_f64 v[78:79], v[78:79], v[80:81]
	s_mov_b32 s14, s6
	s_mov_b32 s12, 0xa6aea964
	;; [unrolled: 1-line block ×4, first 2 shown]
	v_fma_f64 v[64:65], v[108:109], v[64:65], v[188:189]
	v_fma_f64 v[66:67], v[108:109], v[66:67], -v[110:111]
	v_fma_f64 v[72:73], v[88:89], v[72:73], v[192:193]
	v_fma_f64 v[74:75], v[88:89], v[74:75], -v[90:91]
	s_waitcnt lgkmcnt(1)
	v_mul_f64 v[88:89], v[138:139], v[182:183]
	v_mul_f64 v[90:91], v[138:139], v[180:181]
	v_fma_f64 v[68:69], v[92:93], v[68:69], v[190:191]
	v_fma_f64 v[70:71], v[92:93], v[70:71], -v[94:95]
	v_mul_f64 v[92:93], v[130:131], v[162:163]
	v_mul_f64 v[94:95], v[130:131], v[160:161]
	;; [unrolled: 1-line block ×4, first 2 shown]
	v_fma_f64 v[84:85], v[112:113], v[84:85], v[196:197]
	v_fma_f64 v[86:87], v[112:113], v[86:87], -v[114:115]
	v_mul_f64 v[112:113], v[118:119], v[174:175]
	v_mul_f64 v[114:115], v[118:119], v[172:173]
	v_fma_f64 v[118:119], v[104:105], v[148:149], v[198:199]
	v_fma_f64 v[104:105], v[104:105], v[150:151], -v[106:107]
	v_mul_f64 v[106:107], v[98:99], v[154:155]
	v_mul_f64 v[98:99], v[98:99], v[152:153]
	s_waitcnt lgkmcnt(0)
	v_mul_f64 v[130:131], v[134:135], v[184:185]
	v_mul_f64 v[134:135], v[134:135], v[186:187]
	v_fma_f64 v[138:139], v[100:101], v[156:157], v[200:201]
	v_fma_f64 v[100:101], v[100:101], v[158:159], -v[102:103]
	v_fma_f64 v[102:103], v[120:121], v[168:169], v[204:205]
	v_fma_f64 v[120:121], v[120:121], v[170:171], -v[122:123]
	;; [unrolled: 2-line block ×8, first 2 shown]
	s_mov_b32 s16, s12
	v_fma_f64 v[106:107], v[96:97], v[152:153], v[106:107]
	v_fma_f64 v[96:97], v[96:97], v[154:155], -v[98:99]
	v_fma_f64 v[98:99], v[132:133], v[186:187], -v[130:131]
	v_fma_f64 v[112:113], v[132:133], v[184:185], v[134:135]
	v_add_f64 v[114:115], v[144:145], -v[138:139]
	v_add_f64 v[100:101], v[146:147], -v[100:101]
	;; [unrolled: 1-line block ×16, first 2 shown]
	v_fma_f64 v[124:125], v[144:145], 2.0, -v[114:115]
	v_fma_f64 v[126:127], v[146:147], 2.0, -v[100:101]
	;; [unrolled: 1-line block ×8, first 2 shown]
	v_add_f64 v[116:117], v[114:115], v[116:117]
	v_add_f64 v[102:103], v[100:101], -v[102:103]
	v_fma_f64 v[84:85], v[84:85], 2.0, -v[108:109]
	v_fma_f64 v[86:87], v[86:87], 2.0, -v[110:111]
	v_add_f64 v[90:91], v[120:121], v[90:91]
	v_add_f64 v[88:89], v[122:123], -v[88:89]
	v_add_f64 v[110:111], v[92:93], v[110:111]
	v_add_f64 v[108:109], v[94:95], -v[108:109]
	v_fma_f64 v[64:65], v[64:65], 2.0, -v[92:93]
	v_fma_f64 v[66:67], v[66:67], 2.0, -v[94:95]
	;; [unrolled: 1-line block ×4, first 2 shown]
	v_add_f64 v[128:129], v[78:79], v[98:99]
	v_add_f64 v[130:131], v[82:83], -v[112:113]
	v_fma_f64 v[106:107], v[106:107], 2.0, -v[112:113]
	v_fma_f64 v[96:97], v[96:97], 2.0, -v[98:99]
	v_add_f64 v[72:73], v[124:125], -v[72:73]
	v_add_f64 v[74:75], v[126:127], -v[74:75]
	;; [unrolled: 1-line block ×4, first 2 shown]
	v_fma_f64 v[112:113], v[114:115], 2.0, -v[116:117]
	v_fma_f64 v[100:101], v[100:101], 2.0, -v[102:103]
	v_fma_f64 v[114:115], v[120:121], 2.0, -v[90:91]
	v_fma_f64 v[118:119], v[122:123], 2.0, -v[88:89]
	v_fma_f64 v[92:93], v[92:93], 2.0, -v[110:111]
	v_fma_f64 v[94:95], v[94:95], 2.0, -v[108:109]
	v_add_f64 v[84:85], v[64:65], -v[84:85]
	v_add_f64 v[86:87], v[66:67], -v[86:87]
	v_fma_f64 v[78:79], v[78:79], 2.0, -v[128:129]
	v_fma_f64 v[82:83], v[82:83], 2.0, -v[130:131]
	v_add_f64 v[106:107], v[80:81], -v[106:107]
	v_add_f64 v[96:97], v[76:77], -v[96:97]
	v_fma_f64 v[120:121], v[124:125], 2.0, -v[72:73]
	v_fma_f64 v[122:123], v[126:127], 2.0, -v[74:75]
	v_fma_f64 v[124:125], v[90:91], s[2:3], v[116:117]
	v_fma_f64 v[126:127], v[88:89], s[2:3], v[102:103]
	v_fma_f64 v[68:69], v[68:69], 2.0, -v[98:99]
	v_fma_f64 v[70:71], v[70:71], 2.0, -v[104:105]
	v_fma_f64 v[132:133], v[128:129], s[2:3], v[110:111]
	v_fma_f64 v[134:135], v[130:131], s[2:3], v[108:109]
	v_add_f64 v[104:105], v[72:73], v[104:105]
	v_add_f64 v[144:145], v[74:75], -v[98:99]
	v_fma_f64 v[136:137], v[114:115], s[0:1], v[112:113]
	v_fma_f64 v[138:139], v[118:119], s[0:1], v[100:101]
	v_fma_f64 v[64:65], v[64:65], 2.0, -v[84:85]
	v_fma_f64 v[66:67], v[66:67], 2.0, -v[86:87]
	v_fma_f64 v[140:141], v[78:79], s[0:1], v[92:93]
	v_fma_f64 v[142:143], v[82:83], s[0:1], v[94:95]
	v_fma_f64 v[80:81], v[80:81], 2.0, -v[106:107]
	v_fma_f64 v[76:77], v[76:77], 2.0, -v[96:97]
	v_fma_f64 v[124:125], v[88:89], s[2:3], v[124:125]
	v_fma_f64 v[126:127], v[90:91], s[0:1], v[126:127]
	v_add_f64 v[98:99], v[120:121], -v[68:69]
	v_add_f64 v[146:147], v[122:123], -v[70:71]
	v_add_f64 v[70:71], v[84:85], v[96:97]
	v_add_f64 v[68:69], v[86:87], -v[106:107]
	v_fma_f64 v[88:89], v[130:131], s[2:3], v[132:133]
	v_fma_f64 v[90:91], v[128:129], s[0:1], v[134:135]
	;; [unrolled: 1-line block ×4, first 2 shown]
	v_fma_f64 v[114:115], v[72:73], 2.0, -v[104:105]
	v_fma_f64 v[118:119], v[74:75], 2.0, -v[144:145]
	v_fma_f64 v[96:97], v[82:83], s[2:3], v[140:141]
	v_fma_f64 v[106:107], v[78:79], s[0:1], v[142:143]
	v_add_f64 v[78:79], v[64:65], -v[80:81]
	v_add_f64 v[76:77], v[66:67], -v[76:77]
	v_fma_f64 v[116:117], v[116:117], 2.0, -v[124:125]
	v_fma_f64 v[132:133], v[102:103], 2.0, -v[126:127]
	;; [unrolled: 1-line block ×10, first 2 shown]
	v_fma_f64 v[72:73], v[70:71], s[2:3], v[104:105]
	v_fma_f64 v[74:75], v[68:69], s[2:3], v[144:145]
	;; [unrolled: 1-line block ×4, first 2 shown]
	v_fma_f64 v[100:101], v[92:93], 2.0, -v[96:97]
	v_fma_f64 v[92:93], v[94:95], 2.0, -v[106:107]
	;; [unrolled: 1-line block ×4, first 2 shown]
	v_fma_f64 v[148:149], v[96:97], s[12:13], v[128:129]
	v_fma_f64 v[150:151], v[106:107], s[12:13], v[130:131]
	v_add_f64 v[64:65], v[98:99], v[76:77]
	v_add_f64 v[66:67], v[146:147], -v[78:79]
	v_fma_f64 v[112:113], v[82:83], s[0:1], v[114:115]
	v_fma_f64 v[138:139], v[80:81], s[0:1], v[118:119]
	v_fma_f64 v[140:141], v[86:87], s[16:17], v[116:117]
	v_fma_f64 v[142:143], v[84:85], s[16:17], v[132:133]
	v_fma_f64 v[68:69], v[68:69], s[2:3], v[72:73]
	v_fma_f64 v[70:71], v[70:71], s[0:1], v[74:75]
	v_fma_f64 v[72:73], v[90:91], s[12:13], v[108:109]
	v_fma_f64 v[74:75], v[88:89], s[16:17], v[110:111]
	v_fma_f64 v[152:153], v[100:101], s[6:7], v[134:135]
	v_fma_f64 v[154:155], v[92:93], s[6:7], v[136:137]
	v_add_f64 v[76:77], v[120:121], -v[94:95]
	v_add_f64 v[78:79], v[122:123], -v[102:103]
	v_fma_f64 v[88:89], v[106:107], s[14:15], v[148:149]
	v_fma_f64 v[90:91], v[96:97], s[6:7], v[150:151]
	v_fma_f64 v[96:97], v[98:99], 2.0, -v[64:65]
	v_fma_f64 v[98:99], v[146:147], 2.0, -v[66:67]
	v_fma_f64 v[80:81], v[80:81], s[2:3], v[112:113]
	v_fma_f64 v[82:83], v[82:83], s[0:1], v[138:139]
	;; [unrolled: 1-line block ×4, first 2 shown]
	s_mov_b32 s0, 0x55555555
	s_mov_b32 s1, 0x3f555555
	s_mul_i32 s3, s8, 0x300
	v_fma_f64 v[102:103], v[144:145], 2.0, -v[70:71]
	s_mul_i32 s2, s9, 0x300
	v_fma_f64 v[106:107], v[126:127], 2.0, -v[74:75]
	s_mul_hi_u32 s6, s8, 0x300
	v_fma_f64 v[92:93], v[92:93], s[12:13], v[152:153]
	v_fma_f64 v[94:95], v[100:101], s[16:17], v[154:155]
	v_fma_f64 v[100:101], v[104:105], 2.0, -v[68:69]
	v_fma_f64 v[104:105], v[124:125], 2.0, -v[72:73]
	;; [unrolled: 1-line block ×6, first 2 shown]
	s_add_i32 s2, s6, s2
	v_fma_f64 v[112:113], v[114:115], 2.0, -v[80:81]
	v_fma_f64 v[114:115], v[118:119], 2.0, -v[82:83]
	v_fma_f64 v[116:117], v[116:117], 2.0, -v[84:85]
	v_fma_f64 v[118:119], v[132:133], 2.0, -v[86:87]
	v_fma_f64 v[124:125], v[134:135], 2.0, -v[92:93]
	v_fma_f64 v[126:127], v[136:137], 2.0, -v[94:95]
	ds_write_b128 v213, v[64:67] offset:9216
	ds_write_b128 v213, v[68:71] offset:10752
	;; [unrolled: 1-line block ×10, first 2 shown]
	ds_write_b128 v213, v[108:111]
	ds_write_b128 v213, v[112:115] offset:1536
	ds_write_b128 v213, v[116:119] offset:2304
	;; [unrolled: 1-line block ×5, first 2 shown]
	s_waitcnt lgkmcnt(0)
	s_barrier
	buffer_gl0_inv
	ds_read_b128 v[64:67], v213
	ds_read_b128 v[68:71], v213 offset:768
	ds_read_b128 v[72:75], v213 offset:1536
	;; [unrolled: 1-line block ×3, first 2 shown]
	v_mad_u64_u32 v[88:89], null, s10, v208, 0
	v_mad_u64_u32 v[90:91], null, s8, v214, 0
	;; [unrolled: 1-line block ×3, first 2 shown]
	v_mov_b32_e32 v80, v89
	v_mov_b32_e32 v81, v91
	v_mad_u64_u32 v[84:85], null, s11, v208, v[80:81]
	s_waitcnt lgkmcnt(3)
	v_mul_f64 v[94:95], v[58:59], v[66:67]
	v_mul_f64 v[58:59], v[58:59], v[64:65]
	s_waitcnt lgkmcnt(2)
	v_mul_f64 v[96:97], v[54:55], v[70:71]
	v_mul_f64 v[54:55], v[54:55], v[68:69]
	;; [unrolled: 3-line block ×3, first 2 shown]
	v_mad_u64_u32 v[85:86], null, s9, v214, v[81:82]
	s_waitcnt lgkmcnt(0)
	v_mul_f64 v[100:101], v[62:63], v[78:79]
	v_mul_f64 v[62:63], v[62:63], v[76:77]
	ds_read_b128 v[80:83], v213 offset:3072
	v_mov_b32_e32 v89, v84
	v_mov_b32_e32 v91, v85
	ds_read_b128 v[84:87], v213 offset:3840
	v_lshlrev_b64 v[88:89], 4, v[88:89]
	v_lshlrev_b64 v[90:91], 4, v[90:91]
	v_fma_f64 v[64:65], v[56:57], v[64:65], v[94:95]
	v_fma_f64 v[56:57], v[56:57], v[66:67], -v[58:59]
	v_fma_f64 v[58:59], v[52:53], v[68:69], v[96:97]
	v_fma_f64 v[66:67], v[52:53], v[70:71], -v[54:55]
	;; [unrolled: 2-line block ×3, first 2 shown]
	v_add_co_u32 v102, vcc_lo, s4, v88
	v_add_co_ci_u32_e32 v103, vcc_lo, s5, v89, vcc_lo
	s_waitcnt lgkmcnt(1)
	v_mul_f64 v[88:89], v[34:35], v[82:83]
	v_mul_f64 v[34:35], v[34:35], v[80:81]
	v_fma_f64 v[72:73], v[60:61], v[76:77], v[100:101]
	v_fma_f64 v[74:75], v[60:61], v[78:79], -v[62:63]
	s_waitcnt lgkmcnt(0)
	v_mul_f64 v[76:77], v[46:47], v[86:87]
	v_mul_f64 v[78:79], v[46:47], v[84:85]
	ds_read_b128 v[46:49], v213 offset:4608
	ds_read_b128 v[50:53], v213 offset:5376
	v_add_co_u32 v90, vcc_lo, v102, v90
	v_add_co_ci_u32_e32 v91, vcc_lo, v103, v91, vcc_lo
	v_mul_f64 v[54:55], v[64:65], s[0:1]
	v_mul_f64 v[56:57], v[56:57], s[0:1]
	;; [unrolled: 1-line block ×6, first 2 shown]
	v_add_co_u32 v94, vcc_lo, v90, s3
	v_add_co_ci_u32_e32 v95, vcc_lo, s2, v91, vcc_lo
	v_fma_f64 v[80:81], v[32:33], v[80:81], v[88:89]
	v_fma_f64 v[66:67], v[32:33], v[82:83], -v[34:35]
	v_mul_f64 v[32:33], v[72:73], s[0:1]
	v_mul_f64 v[34:35], v[74:75], s[0:1]
	s_waitcnt lgkmcnt(1)
	v_mul_f64 v[72:73], v[42:43], v[48:49]
	v_mul_f64 v[74:75], v[42:43], v[46:47]
	v_mad_u64_u32 v[42:43], null, s9, v217, v[93:94]
	v_fma_f64 v[68:69], v[44:45], v[84:85], v[76:77]
	v_fma_f64 v[70:71], v[44:45], v[86:87], -v[78:79]
	v_add_co_u32 v44, vcc_lo, v94, s3
	v_add_co_ci_u32_e32 v45, vcc_lo, s2, v95, vcc_lo
	s_waitcnt lgkmcnt(0)
	v_mul_f64 v[78:79], v[38:39], v[52:53]
	v_add_co_u32 v76, vcc_lo, v44, s3
	v_mul_f64 v[38:39], v[38:39], v[50:51]
	global_store_dwordx4 v[90:91], v[54:57], off
	global_store_dwordx4 v[94:95], v[58:61], off
	global_store_dwordx4 v[44:45], v[62:65], off
	v_add_co_ci_u32_e32 v77, vcc_lo, s2, v45, vcc_lo
	v_mov_b32_e32 v93, v42
	ds_read_b128 v[42:45], v213 offset:6144
	s_mul_i32 s4, s9, 0x600
	global_store_dwordx4 v[76:77], v[32:35], off
	v_mul_f64 v[32:33], v[80:81], s[0:1]
	v_mul_f64 v[34:35], v[66:67], s[0:1]
	v_fma_f64 v[60:61], v[40:41], v[46:47], v[72:73]
	v_fma_f64 v[40:41], v[40:41], v[48:49], -v[74:75]
	v_mul_f64 v[54:55], v[68:69], s[0:1]
	v_mul_f64 v[56:57], v[70:71], s[0:1]
	v_lshlrev_b64 v[58:59], 4, v[92:93]
	s_mul_hi_u32 s5, s8, 0x600
	s_add_i32 s4, s5, s4
	v_fma_f64 v[62:63], v[36:37], v[50:51], v[78:79]
	s_mul_i32 s5, s8, 0x600
	v_add_co_u32 v58, vcc_lo, v102, v58
	v_fma_f64 v[64:65], v[36:37], v[52:53], -v[38:39]
	ds_read_b128 v[36:39], v213 offset:6912
	ds_read_b128 v[46:49], v213 offset:7680
	;; [unrolled: 1-line block ×3, first 2 shown]
	s_waitcnt lgkmcnt(3)
	v_mul_f64 v[66:67], v[30:31], v[44:45]
	v_mul_f64 v[68:69], v[30:31], v[42:43]
	v_add_co_ci_u32_e32 v59, vcc_lo, v103, v59, vcc_lo
	v_add_co_u32 v70, vcc_lo, v76, s5
	v_add_co_ci_u32_e32 v71, vcc_lo, s4, v77, vcc_lo
	global_store_dwordx4 v[58:59], v[32:35], off
	global_store_dwordx4 v[70:71], v[54:57], off
	v_mul_f64 v[30:31], v[60:61], s[0:1]
	v_mul_f64 v[32:33], v[40:41], s[0:1]
	v_mad_u64_u32 v[34:35], null, s8, v216, 0
	v_mul_f64 v[54:55], v[62:63], s[0:1]
	v_add_co_u32 v70, vcc_lo, v70, s3
	s_waitcnt lgkmcnt(2)
	v_mul_f64 v[72:73], v[14:15], v[38:39]
	v_mul_f64 v[14:15], v[14:15], v[36:37]
	s_waitcnt lgkmcnt(0)
	v_mul_f64 v[76:77], v[10:11], v[52:53]
	v_mul_f64 v[56:57], v[64:65], s[0:1]
	v_fma_f64 v[74:75], v[28:29], v[42:43], v[66:67]
	v_fma_f64 v[28:29], v[28:29], v[44:45], -v[68:69]
	v_mul_f64 v[44:45], v[6:7], v[48:49]
	v_mul_f64 v[6:7], v[6:7], v[46:47]
	ds_read_b128 v[40:43], v213 offset:9216
	ds_read_b128 v[58:61], v213 offset:9984
	;; [unrolled: 1-line block ×4, first 2 shown]
	v_mul_f64 v[78:79], v[10:11], v[50:51]
	v_mad_u64_u32 v[10:11], null, s9, v216, v[35:36]
	v_add_co_ci_u32_e32 v71, vcc_lo, s2, v71, vcc_lo
	v_add_co_u32 v80, vcc_lo, v70, s3
	global_store_dwordx4 v[70:71], v[30:33], off
	v_mov_b32_e32 v35, v10
	v_add_co_ci_u32_e32 v81, vcc_lo, s2, v71, vcc_lo
	v_fma_f64 v[30:31], v[12:13], v[36:37], v[72:73]
	v_fma_f64 v[14:15], v[12:13], v[38:39], -v[14:15]
	v_fma_f64 v[36:37], v[8:9], v[50:51], v[76:77]
	global_store_dwordx4 v[80:81], v[54:57], off
	v_mul_f64 v[10:11], v[74:75], s[0:1]
	v_mul_f64 v[12:13], v[28:29], s[0:1]
	v_lshlrev_b64 v[28:29], 4, v[34:35]
	v_fma_f64 v[34:35], v[4:5], v[48:49], -v[6:7]
	s_waitcnt lgkmcnt(2)
	v_mul_f64 v[48:49], v[18:19], v[60:61]
	v_fma_f64 v[32:33], v[4:5], v[46:47], v[44:45]
	v_mul_f64 v[44:45], v[2:3], v[42:43]
	v_mul_f64 v[46:47], v[2:3], v[40:41]
	;; [unrolled: 1-line block ×3, first 2 shown]
	s_waitcnt lgkmcnt(1)
	v_mul_f64 v[50:51], v[22:23], v[64:65]
	v_mul_f64 v[22:23], v[22:23], v[62:63]
	v_fma_f64 v[38:39], v[8:9], v[52:53], -v[78:79]
	s_waitcnt lgkmcnt(0)
	v_mul_f64 v[52:53], v[26:27], v[68:69]
	v_mul_f64 v[54:55], v[26:27], v[66:67]
	v_add_co_u32 v56, vcc_lo, v102, v28
	v_add_co_ci_u32_e32 v57, vcc_lo, v103, v29, vcc_lo
	v_mul_f64 v[2:3], v[30:31], s[0:1]
	v_mul_f64 v[4:5], v[14:15], s[0:1]
	;; [unrolled: 1-line block ×3, first 2 shown]
	v_add_co_u32 v14, vcc_lo, v80, s5
	v_add_co_ci_u32_e32 v15, vcc_lo, s4, v81, vcc_lo
	v_mul_f64 v[8:9], v[34:35], s[0:1]
	v_fma_f64 v[36:37], v[16:17], v[58:59], v[48:49]
	v_mul_f64 v[6:7], v[32:33], s[0:1]
	v_fma_f64 v[30:31], v[0:1], v[40:41], v[44:45]
	v_fma_f64 v[32:33], v[0:1], v[42:43], -v[46:47]
	v_fma_f64 v[16:17], v[16:17], v[60:61], -v[18:19]
	v_fma_f64 v[18:19], v[20:21], v[62:63], v[50:51]
	v_fma_f64 v[20:21], v[20:21], v[64:65], -v[22:23]
	v_mul_f64 v[28:29], v[38:39], s[0:1]
	v_fma_f64 v[22:23], v[24:25], v[66:67], v[52:53]
	v_fma_f64 v[24:25], v[24:25], v[68:69], -v[54:55]
	v_mad_u64_u32 v[34:35], null, s8, v215, 0
	v_add_co_u32 v0, vcc_lo, v14, s3
	v_add_co_ci_u32_e32 v1, vcc_lo, s2, v15, vcc_lo
	v_add_co_u32 v38, vcc_lo, v0, s3
	v_add_co_ci_u32_e32 v39, vcc_lo, s2, v1, vcc_lo
	global_store_dwordx4 v[56:57], v[10:13], off
	global_store_dwordx4 v[14:15], v[2:5], off
	;; [unrolled: 1-line block ×4, first 2 shown]
	v_mad_u64_u32 v[40:41], null, s9, v215, v[35:36]
	v_mul_f64 v[0:1], v[30:31], s[0:1]
	v_mul_f64 v[2:3], v[32:33], s[0:1]
	;; [unrolled: 1-line block ×8, first 2 shown]
	v_mov_b32_e32 v35, v40
	v_add_co_u32 v16, vcc_lo, v38, s5
	v_add_co_ci_u32_e32 v17, vcc_lo, s4, v39, vcc_lo
	v_lshlrev_b64 v[18:19], 4, v[34:35]
	v_add_co_u32 v20, vcc_lo, v16, s3
	v_add_co_ci_u32_e32 v21, vcc_lo, s2, v17, vcc_lo
	v_add_co_u32 v18, vcc_lo, v102, v18
	v_add_co_ci_u32_e32 v19, vcc_lo, v103, v19, vcc_lo
	;; [unrolled: 2-line block ×3, first 2 shown]
	global_store_dwordx4 v[18:19], v[0:3], off
	global_store_dwordx4 v[16:17], v[4:7], off
	;; [unrolled: 1-line block ×4, first 2 shown]
.LBB0_10:
	s_endpgm
	.section	.rodata,"a",@progbits
	.p2align	6, 0x0
	.amdhsa_kernel bluestein_single_back_len768_dim1_dp_op_CI_CI
		.amdhsa_group_segment_fixed_size 12288
		.amdhsa_private_segment_fixed_size 0
		.amdhsa_kernarg_size 104
		.amdhsa_user_sgpr_count 6
		.amdhsa_user_sgpr_private_segment_buffer 1
		.amdhsa_user_sgpr_dispatch_ptr 0
		.amdhsa_user_sgpr_queue_ptr 0
		.amdhsa_user_sgpr_kernarg_segment_ptr 1
		.amdhsa_user_sgpr_dispatch_id 0
		.amdhsa_user_sgpr_flat_scratch_init 0
		.amdhsa_user_sgpr_private_segment_size 0
		.amdhsa_wavefront_size32 1
		.amdhsa_uses_dynamic_stack 0
		.amdhsa_system_sgpr_private_segment_wavefront_offset 0
		.amdhsa_system_sgpr_workgroup_id_x 1
		.amdhsa_system_sgpr_workgroup_id_y 0
		.amdhsa_system_sgpr_workgroup_id_z 0
		.amdhsa_system_sgpr_workgroup_info 0
		.amdhsa_system_vgpr_workitem_id 0
		.amdhsa_next_free_vgpr 243
		.amdhsa_next_free_sgpr 22
		.amdhsa_reserve_vcc 1
		.amdhsa_reserve_flat_scratch 0
		.amdhsa_float_round_mode_32 0
		.amdhsa_float_round_mode_16_64 0
		.amdhsa_float_denorm_mode_32 3
		.amdhsa_float_denorm_mode_16_64 3
		.amdhsa_dx10_clamp 1
		.amdhsa_ieee_mode 1
		.amdhsa_fp16_overflow 0
		.amdhsa_workgroup_processor_mode 1
		.amdhsa_memory_ordered 1
		.amdhsa_forward_progress 0
		.amdhsa_shared_vgpr_count 0
		.amdhsa_exception_fp_ieee_invalid_op 0
		.amdhsa_exception_fp_denorm_src 0
		.amdhsa_exception_fp_ieee_div_zero 0
		.amdhsa_exception_fp_ieee_overflow 0
		.amdhsa_exception_fp_ieee_underflow 0
		.amdhsa_exception_fp_ieee_inexact 0
		.amdhsa_exception_int_div_zero 0
	.end_amdhsa_kernel
	.text
.Lfunc_end0:
	.size	bluestein_single_back_len768_dim1_dp_op_CI_CI, .Lfunc_end0-bluestein_single_back_len768_dim1_dp_op_CI_CI
                                        ; -- End function
	.section	.AMDGPU.csdata,"",@progbits
; Kernel info:
; codeLenInByte = 14640
; NumSgprs: 24
; NumVgprs: 243
; ScratchSize: 0
; MemoryBound: 0
; FloatMode: 240
; IeeeMode: 1
; LDSByteSize: 12288 bytes/workgroup (compile time only)
; SGPRBlocks: 2
; VGPRBlocks: 30
; NumSGPRsForWavesPerEU: 24
; NumVGPRsForWavesPerEU: 243
; Occupancy: 4
; WaveLimiterHint : 1
; COMPUTE_PGM_RSRC2:SCRATCH_EN: 0
; COMPUTE_PGM_RSRC2:USER_SGPR: 6
; COMPUTE_PGM_RSRC2:TRAP_HANDLER: 0
; COMPUTE_PGM_RSRC2:TGID_X_EN: 1
; COMPUTE_PGM_RSRC2:TGID_Y_EN: 0
; COMPUTE_PGM_RSRC2:TGID_Z_EN: 0
; COMPUTE_PGM_RSRC2:TIDIG_COMP_CNT: 0
	.text
	.p2alignl 6, 3214868480
	.fill 48, 4, 3214868480
	.type	__hip_cuid_2de650b2027c06fd,@object ; @__hip_cuid_2de650b2027c06fd
	.section	.bss,"aw",@nobits
	.globl	__hip_cuid_2de650b2027c06fd
__hip_cuid_2de650b2027c06fd:
	.byte	0                               ; 0x0
	.size	__hip_cuid_2de650b2027c06fd, 1

	.ident	"AMD clang version 19.0.0git (https://github.com/RadeonOpenCompute/llvm-project roc-6.4.0 25133 c7fe45cf4b819c5991fe208aaa96edf142730f1d)"
	.section	".note.GNU-stack","",@progbits
	.addrsig
	.addrsig_sym __hip_cuid_2de650b2027c06fd
	.amdgpu_metadata
---
amdhsa.kernels:
  - .args:
      - .actual_access:  read_only
        .address_space:  global
        .offset:         0
        .size:           8
        .value_kind:     global_buffer
      - .actual_access:  read_only
        .address_space:  global
        .offset:         8
        .size:           8
        .value_kind:     global_buffer
      - .actual_access:  read_only
        .address_space:  global
        .offset:         16
        .size:           8
        .value_kind:     global_buffer
      - .actual_access:  read_only
        .address_space:  global
        .offset:         24
        .size:           8
        .value_kind:     global_buffer
      - .actual_access:  read_only
        .address_space:  global
        .offset:         32
        .size:           8
        .value_kind:     global_buffer
      - .offset:         40
        .size:           8
        .value_kind:     by_value
      - .address_space:  global
        .offset:         48
        .size:           8
        .value_kind:     global_buffer
      - .address_space:  global
        .offset:         56
        .size:           8
        .value_kind:     global_buffer
      - .address_space:  global
        .offset:         64
        .size:           8
        .value_kind:     global_buffer
      - .address_space:  global
        .offset:         72
        .size:           8
        .value_kind:     global_buffer
      - .offset:         80
        .size:           4
        .value_kind:     by_value
      - .address_space:  global
        .offset:         88
        .size:           8
        .value_kind:     global_buffer
      - .address_space:  global
        .offset:         96
        .size:           8
        .value_kind:     global_buffer
    .group_segment_fixed_size: 12288
    .kernarg_segment_align: 8
    .kernarg_segment_size: 104
    .language:       OpenCL C
    .language_version:
      - 2
      - 0
    .max_flat_workgroup_size: 48
    .name:           bluestein_single_back_len768_dim1_dp_op_CI_CI
    .private_segment_fixed_size: 0
    .sgpr_count:     24
    .sgpr_spill_count: 0
    .symbol:         bluestein_single_back_len768_dim1_dp_op_CI_CI.kd
    .uniform_work_group_size: 1
    .uses_dynamic_stack: false
    .vgpr_count:     243
    .vgpr_spill_count: 0
    .wavefront_size: 32
    .workgroup_processor_mode: 1
amdhsa.target:   amdgcn-amd-amdhsa--gfx1030
amdhsa.version:
  - 1
  - 2
...

	.end_amdgpu_metadata
